;; amdgpu-corpus repo=ROCm/rocFFT kind=compiled arch=gfx950 opt=O3
	.text
	.amdgcn_target "amdgcn-amd-amdhsa--gfx950"
	.amdhsa_code_object_version 6
	.protected	fft_rtc_back_len108_factors_6_2_9_wgs_252_tpt_9_dim2_sp_ip_CI_sbcc_twdbase8_3step_dirReg ; -- Begin function fft_rtc_back_len108_factors_6_2_9_wgs_252_tpt_9_dim2_sp_ip_CI_sbcc_twdbase8_3step_dirReg
	.globl	fft_rtc_back_len108_factors_6_2_9_wgs_252_tpt_9_dim2_sp_ip_CI_sbcc_twdbase8_3step_dirReg
	.p2align	8
	.type	fft_rtc_back_len108_factors_6_2_9_wgs_252_tpt_9_dim2_sp_ip_CI_sbcc_twdbase8_3step_dirReg,@function
fft_rtc_back_len108_factors_6_2_9_wgs_252_tpt_9_dim2_sp_ip_CI_sbcc_twdbase8_3step_dirReg: ; @fft_rtc_back_len108_factors_6_2_9_wgs_252_tpt_9_dim2_sp_ip_CI_sbcc_twdbase8_3step_dirReg
; %bb.0:
	s_load_dwordx4 s[4:7], s[0:1], 0x10
	s_mov_b32 s3, 0
	s_mov_b64 s[20:21], -1
	s_waitcnt lgkmcnt(0)
	s_load_dwordx2 s[16:17], s[4:5], 0x8
	s_load_dwordx2 s[14:15], s[0:1], 0x50
	;; [unrolled: 1-line block ×3, first 2 shown]
	s_waitcnt lgkmcnt(0)
	s_add_u32 s4, s16, -1
	s_addc_u32 s5, s17, -1
	s_add_u32 s8, 0, 0x24920400
	s_addc_u32 s9, 0, 25
	s_add_i32 s9, s9, 0x9249230
	s_mul_hi_u32 s19, s8, 0xffffffe4
	s_sub_i32 s19, s19, s8
	s_mul_i32 s22, s9, 0xffffffe4
	s_mul_i32 s10, s8, 0xffffffe4
	s_add_i32 s19, s19, s22
	s_mul_hi_u32 s11, s9, s10
	s_mul_i32 s18, s9, s10
	s_mul_i32 s23, s8, s19
	s_mul_hi_u32 s10, s8, s10
	s_mul_hi_u32 s22, s8, s19
	s_add_u32 s10, s10, s23
	s_addc_u32 s22, 0, s22
	s_add_u32 s10, s10, s18
	s_mul_hi_u32 s23, s9, s19
	s_addc_u32 s10, s22, s11
	s_addc_u32 s11, s23, 0
	s_mul_i32 s18, s9, s19
	s_add_u32 s10, s10, s18
	v_mov_b32_e32 v1, s10
	s_addc_u32 s11, 0, s11
	v_add_co_u32_e32 v1, vcc, s8, v1
	s_cmp_lg_u64 vcc, 0
	s_addc_u32 s8, s9, s11
	v_readfirstlane_b32 s11, v1
	s_mul_i32 s10, s4, s8
	s_mul_hi_u32 s18, s4, s11
	s_mul_hi_u32 s9, s4, s8
	s_add_u32 s10, s18, s10
	s_addc_u32 s9, 0, s9
	s_mul_hi_u32 s19, s5, s11
	s_mul_i32 s11, s5, s11
	s_add_u32 s10, s10, s11
	s_mul_hi_u32 s18, s5, s8
	s_addc_u32 s9, s9, s19
	s_addc_u32 s10, s18, 0
	s_mul_i32 s8, s5, s8
	s_add_u32 s8, s9, s8
	s_addc_u32 s9, 0, s10
	s_add_u32 s10, s8, 1
	s_addc_u32 s11, s9, 0
	s_add_u32 s18, s8, 2
	s_mul_i32 s22, s9, 28
	s_mul_hi_u32 s23, s8, 28
	s_addc_u32 s19, s9, 0
	s_add_i32 s23, s23, s22
	s_mul_i32 s22, s8, 28
	v_mov_b32_e32 v1, s22
	v_sub_co_u32_e32 v1, vcc, s4, v1
	s_cmp_lg_u64 vcc, 0
	s_subb_u32 s4, s5, s23
	v_subrev_co_u32_e32 v2, vcc, 28, v1
	s_cmp_lg_u64 vcc, 0
	s_subb_u32 s5, s4, 0
	v_readfirstlane_b32 s22, v2
	s_cmp_gt_u32 s22, 27
	s_cselect_b32 s22, -1, 0
	s_cmp_eq_u32 s5, 0
	s_cselect_b32 s5, s22, -1
	s_cmp_lg_u32 s5, 0
	s_cselect_b32 s5, s18, s10
	s_cselect_b32 s10, s19, s11
	v_readfirstlane_b32 s11, v1
	s_cmp_gt_u32 s11, 27
	s_cselect_b32 s11, -1, 0
	s_cmp_eq_u32 s4, 0
	s_cselect_b32 s4, s11, -1
	s_cmp_lg_u32 s4, 0
	s_cselect_b32 s4, s5, s8
	s_cselect_b32 s9, s10, s9
	s_add_u32 s4, s4, 1
	s_addc_u32 s5, s9, 0
	v_mov_b64_e32 v[2:3], s[4:5]
	v_cmp_lt_u64_e32 vcc, s[2:3], v[2:3]
	s_mov_b64 s[22:23], 0
	s_cbranch_vccnz .LBB0_2
; %bb.1:
	v_cvt_f32_u32_e32 v1, s4
	s_sub_i32 s3, 0, s4
	v_rcp_iflag_f32_e32 v1, v1
	s_nop 0
	v_mul_f32_e32 v1, 0x4f7ffffe, v1
	v_cvt_u32_f32_e32 v1, v1
	s_nop 0
	v_readfirstlane_b32 s8, v1
	s_mul_i32 s3, s3, s8
	s_mul_hi_u32 s3, s8, s3
	s_add_i32 s8, s8, s3
	s_mul_hi_u32 s3, s2, s8
	s_mul_i32 s9, s3, s4
	s_sub_i32 s9, s2, s9
	s_add_i32 s8, s3, 1
	s_sub_i32 s10, s9, s4
	s_cmp_ge_u32 s9, s4
	s_cselect_b32 s3, s8, s3
	s_cselect_b32 s9, s10, s9
	s_add_i32 s8, s3, 1
	s_cmp_ge_u32 s9, s4
	s_cselect_b32 s22, s8, s3
.LBB0_2:
	s_mul_i32 s3, s22, s5
	s_mul_hi_u32 s5, s22, s4
	s_load_dwordx4 s[8:11], s[6:7], 0x8
	s_add_i32 s5, s5, s3
	s_mul_i32 s3, s22, s4
	s_sub_u32 s2, s2, s3
	s_subb_u32 s3, 0, s5
	s_mul_i32 s4, s3, 28
	s_mul_hi_u32 s3, s2, 28
	s_mul_i32 s23, s2, 28
	s_add_i32 s5, s3, s4
	s_waitcnt lgkmcnt(0)
	s_mul_i32 s6, s23, s9
	s_mul_hi_u32 s7, s23, s8
	v_mul_u32_u24_e32 v1, 0x925, v0
	s_mul_i32 s3, s5, s8
	s_add_i32 s6, s7, s6
	s_mul_i32 s7, s11, s22
	s_mul_hi_u32 s11, s10, s22
	v_lshrrev_b32_e32 v112, 16, v1
	s_add_i32 s3, s6, s3
	s_mul_i32 s6, s23, s8
	s_add_i32 s11, s11, s7
	s_mul_i32 s7, s10, s22
	v_mul_lo_u16_e32 v1, 28, v112
	s_add_u32 s6, s7, s6
	v_sub_u16_e32 v16, v0, v1
	v_mov_b32_e32 v17, 0
	s_load_dwordx2 s[18:19], s[0:1], 0x0
	s_addc_u32 s7, s11, s3
	v_mad_u64_u32 v[18:19], s[2:3], s2, 28, v[16:17]
	s_add_u32 s2, s23, 28
	s_addc_u32 s3, s5, 0
	v_mov_b64_e32 v[2:3], s[16:17]
	v_cmp_gt_u64_e32 vcc, s[2:3], v[2:3]
	v_add_u32_e32 v19, s4, v19
	v_cmp_le_u64_e64 s[4:5], s[2:3], v[2:3]
	s_and_b64 vcc, exec, vcc
	v_add_u32_e32 v32, 18, v112
	v_add_u32_e32 v33, 36, v112
	;; [unrolled: 1-line block ×5, first 2 shown]
	s_cbranch_vccnz .LBB0_4
; %bb.3:
	v_mad_u64_u32 v[2:3], s[2:3], s8, v16, 0
	v_mov_b32_e32 v4, v3
	v_mad_u64_u32 v[4:5], s[2:3], s9, v16, v[4:5]
	v_mov_b32_e32 v3, v4
	;; [unrolled: 2-line block ×3, first 2 shown]
	v_mad_u64_u32 v[6:7], s[2:3], s13, v112, v[6:7]
	s_lshl_b64 s[2:3], s[6:7], 3
	s_add_u32 s2, s14, s2
	s_addc_u32 s3, s15, s3
	v_add_u32_e32 v1, 18, v112
	v_mov_b32_e32 v5, v6
	v_lshl_add_u64 v[10:11], v[2:3], 3, s[2:3]
	v_mad_u64_u32 v[2:3], s[2:3], s12, v1, 0
	v_lshl_add_u64 v[12:13], v[4:5], 3, v[10:11]
	v_mov_b32_e32 v4, v3
	v_mad_u64_u32 v[4:5], s[2:3], s13, v1, v[4:5]
	v_mov_b32_e32 v3, v4
	v_add_u32_e32 v30, 36, v112
	v_lshl_add_u64 v[14:15], v[2:3], 3, v[10:11]
	v_mad_u64_u32 v[2:3], s[2:3], s12, v30, 0
	v_mov_b32_e32 v4, v3
	v_mad_u64_u32 v[4:5], s[2:3], s13, v30, v[4:5]
	v_mov_b32_e32 v3, v4
	v_add_u32_e32 v5, 54, v112
	v_lshl_add_u64 v[20:21], v[2:3], 3, v[10:11]
	v_mad_u64_u32 v[2:3], s[2:3], s12, v5, 0
	;; [unrolled: 6-line block ×4, first 2 shown]
	v_mov_b32_e32 v4, v3
	v_mad_u64_u32 v[4:5], s[2:3], s13, v5, v[4:5]
	v_mov_b32_e32 v3, v4
	v_add_u32_e32 v17, 9, v112
	v_lshl_add_u64 v[40:41], v[2:3], 3, v[10:11]
	global_load_dwordx2 v[4:5], v[12:13], off
	global_load_dwordx2 v[2:3], v[14:15], off
	;; [unrolled: 1-line block ×4, first 2 shown]
	v_mad_u64_u32 v[12:13], s[2:3], s12, v17, 0
	v_mov_b32_e32 v14, v13
	v_mad_u64_u32 v[14:15], s[2:3], s13, v17, v[14:15]
	v_mov_b32_e32 v13, v14
	v_add_u32_e32 v31, 27, v112
	v_lshl_add_u64 v[42:43], v[12:13], 3, v[10:11]
	v_mad_u64_u32 v[12:13], s[2:3], s12, v31, 0
	v_mov_b32_e32 v14, v13
	v_mad_u64_u32 v[14:15], s[2:3], s13, v31, v[14:15]
	v_mov_b32_e32 v13, v14
	v_add_u32_e32 v113, 45, v112
	v_lshl_add_u64 v[44:45], v[12:13], 3, v[10:11]
	;; [unrolled: 6-line block ×5, first 2 shown]
	v_mad_u64_u32 v[12:13], s[2:3], s12, v15, 0
	v_mov_b32_e32 v14, v13
	v_mad_u64_u32 v[14:15], s[2:3], s13, v15, v[14:15]
	v_mov_b32_e32 v13, v14
	v_lshl_add_u64 v[52:53], v[12:13], 3, v[10:11]
	global_load_dwordx2 v[22:23], v[38:39], off
	global_load_dwordx2 v[26:27], v[40:41], off
	;; [unrolled: 1-line block ×8, first 2 shown]
	s_cbranch_execz .LBB0_5
	s_branch .LBB0_10
.LBB0_4:
                                        ; implicit-def: $vgpr5
                                        ; implicit-def: $vgpr7
                                        ; implicit-def: $vgpr23
                                        ; implicit-def: $vgpr27
                                        ; implicit-def: $vgpr9
                                        ; implicit-def: $vgpr3
                                        ; implicit-def: $vgpr13
                                        ; implicit-def: $vgpr15
                                        ; implicit-def: $vgpr21
                                        ; implicit-def: $vgpr11
                                        ; implicit-def: $vgpr29
                                        ; implicit-def: $vgpr25
                                        ; implicit-def: $vgpr17
                                        ; implicit-def: $vgpr1
                                        ; implicit-def: $vgpr31
                                        ; implicit-def: $vgpr30
                                        ; implicit-def: $vgpr113
	s_andn2_b64 vcc, exec, s[20:21]
	s_cbranch_vccnz .LBB0_10
.LBB0_5:
	v_cmp_le_u64_e32 vcc, s[16:17], v[18:19]
                                        ; implicit-def: $vgpr17
                                        ; implicit-def: $vgpr1
                                        ; implicit-def: $vgpr31
                                        ; implicit-def: $vgpr30
                                        ; implicit-def: $vgpr113
	s_and_saveexec_b64 s[2:3], vcc
	s_xor_b64 s[2:3], exec, s[2:3]
; %bb.6:
	v_add_u32_e32 v17, 9, v112
	v_add_u32_e32 v1, 18, v112
	;; [unrolled: 1-line block ×5, first 2 shown]
                                        ; implicit-def: $vgpr32
                                        ; implicit-def: $vgpr33
                                        ; implicit-def: $vgpr34
                                        ; implicit-def: $vgpr35
                                        ; implicit-def: $vgpr36
; %bb.7:
	s_or_saveexec_b64 s[2:3], s[2:3]
                                        ; implicit-def: $vgpr5
                                        ; implicit-def: $vgpr7
                                        ; implicit-def: $vgpr23
                                        ; implicit-def: $vgpr27
                                        ; implicit-def: $vgpr9
                                        ; implicit-def: $vgpr3
                                        ; implicit-def: $vgpr13
                                        ; implicit-def: $vgpr15
                                        ; implicit-def: $vgpr21
                                        ; implicit-def: $vgpr11
                                        ; implicit-def: $vgpr29
                                        ; implicit-def: $vgpr25
	s_xor_b64 exec, exec, s[2:3]
	s_cbranch_execz .LBB0_9
; %bb.8:
	s_waitcnt vmcnt(10)
	v_mad_u64_u32 v[2:3], s[10:11], s8, v16, 0
	v_mov_b32_e32 v4, v3
	v_mad_u64_u32 v[4:5], s[10:11], s9, v16, v[4:5]
	v_mov_b32_e32 v3, v4
	v_mad_u64_u32 v[4:5], s[10:11], s12, v112, 0
	s_waitcnt vmcnt(9)
	v_mov_b32_e32 v6, v5
	v_mad_u64_u32 v[6:7], s[10:11], s13, v112, v[6:7]
	s_lshl_b64 s[10:11], s[6:7], 3
	s_add_u32 s10, s14, s10
	s_addc_u32 s11, s15, s11
	v_mov_b32_e32 v5, v6
	s_waitcnt vmcnt(4)
	v_lshl_add_u64 v[10:11], v[2:3], 3, s[10:11]
	v_mad_u64_u32 v[2:3], s[10:11], s12, v32, 0
	v_lshl_add_u64 v[12:13], v[4:5], 3, v[10:11]
	v_mov_b32_e32 v4, v3
	v_mad_u64_u32 v[4:5], s[10:11], s13, v32, v[4:5]
	v_mov_b32_e32 v3, v4
	s_waitcnt vmcnt(3)
	v_lshl_add_u64 v[14:15], v[2:3], 3, v[10:11]
	v_mad_u64_u32 v[2:3], s[10:11], s12, v33, 0
	v_mov_b32_e32 v4, v3
	v_mad_u64_u32 v[4:5], s[10:11], s13, v33, v[4:5]
	v_mov_b32_e32 v3, v4
	v_add_u32_e32 v1, 54, v112
	s_waitcnt vmcnt(1)
	v_lshl_add_u64 v[20:21], v[2:3], 3, v[10:11]
	v_mad_u64_u32 v[2:3], s[10:11], s12, v1, 0
	v_mov_b32_e32 v4, v3
	v_mad_u64_u32 v[4:5], s[10:11], s13, v1, v[4:5]
	v_mov_b32_e32 v3, v4
	v_add_u32_e32 v1, 0x48, v112
	v_lshl_add_u64 v[22:23], v[2:3], 3, v[10:11]
	v_mad_u64_u32 v[2:3], s[10:11], s12, v1, 0
	v_mov_b32_e32 v4, v3
	v_mad_u64_u32 v[4:5], s[10:11], s13, v1, v[4:5]
	v_mov_b32_e32 v3, v4
	v_add_u32_e32 v1, 0x5a, v112
	v_lshl_add_u64 v[30:31], v[2:3], 3, v[10:11]
	v_mad_u64_u32 v[2:3], s[10:11], s12, v1, 0
	v_mov_b32_e32 v4, v3
	v_mad_u64_u32 v[4:5], s[10:11], s13, v1, v[4:5]
	v_mov_b32_e32 v3, v4
	v_lshl_add_u64 v[38:39], v[2:3], 3, v[10:11]
	global_load_dwordx2 v[4:5], v[12:13], off
	global_load_dwordx2 v[2:3], v[14:15], off
	;; [unrolled: 1-line block ×4, first 2 shown]
	v_mad_u64_u32 v[12:13], s[10:11], s12, v34, 0
	v_mov_b32_e32 v14, v13
	v_mad_u64_u32 v[14:15], s[10:11], s13, v34, v[14:15]
	v_mov_b32_e32 v13, v14
	v_lshl_add_u64 v[40:41], v[12:13], 3, v[10:11]
	v_mad_u64_u32 v[12:13], s[10:11], s12, v35, 0
	v_mov_b32_e32 v14, v13
	v_mad_u64_u32 v[14:15], s[10:11], s13, v35, v[14:15]
	v_mov_b32_e32 v13, v14
	v_lshl_add_u64 v[42:43], v[12:13], 3, v[10:11]
	v_mad_u64_u32 v[12:13], s[10:11], s12, v36, 0
	v_mov_b32_e32 v14, v13
	v_mad_u64_u32 v[14:15], s[10:11], s13, v36, v[14:15]
	v_mov_b32_e32 v13, v14
	v_add_u32_e32 v1, 63, v112
	v_lshl_add_u64 v[44:45], v[12:13], 3, v[10:11]
	v_mad_u64_u32 v[12:13], s[10:11], s12, v1, 0
	v_mov_b32_e32 v14, v13
	v_mad_u64_u32 v[14:15], s[10:11], s13, v1, v[14:15]
	v_mov_b32_e32 v13, v14
	v_add_u32_e32 v1, 0x51, v112
	;; [unrolled: 6-line block ×3, first 2 shown]
	v_lshl_add_u64 v[48:49], v[12:13], 3, v[10:11]
	v_mad_u64_u32 v[12:13], s[10:11], s12, v1, 0
	v_mov_b32_e32 v14, v13
	v_mad_u64_u32 v[14:15], s[10:11], s13, v1, v[14:15]
	v_mov_b32_e32 v13, v14
	v_lshl_add_u64 v[50:51], v[12:13], 3, v[10:11]
	global_load_dwordx2 v[22:23], v[30:31], off
	global_load_dwordx2 v[26:27], v[38:39], off
	;; [unrolled: 1-line block ×8, first 2 shown]
	v_mov_b32_e32 v17, v34
	v_mov_b32_e32 v1, v32
	;; [unrolled: 1-line block ×5, first 2 shown]
.LBB0_9:
	s_or_b64 exec, exec, s[2:3]
.LBB0_10:
	s_waitcnt vmcnt(8)
	v_pk_add_f32 v[34:35], v[2:3], v[8:9]
	s_waitcnt vmcnt(6)
	v_pk_add_f32 v[36:37], v[8:9], v[26:27]
	;; [unrolled: 2-line block ×3, first 2 shown]
	v_pk_add_f32 v[32:33], v[6:7], v[4:5]
	v_pk_add_f32 v[8:9], v[8:9], v[26:27] neg_lo:[0,1] neg_hi:[0,1]
	s_mov_b32 s10, 0x3f5db3d7
	v_fmac_f32_e32 v3, -0.5, v37
	v_pk_add_f32 v[40:41], v[28:29], v[10:11]
	v_pk_add_f32 v[28:29], v[28:29], v[24:25] neg_lo:[0,1] neg_hi:[0,1]
	v_fmac_f32_e32 v11, -0.5, v43
	v_pk_add_f32 v[26:27], v[34:35], v[26:27]
	v_pk_add_f32 v[34:35], v[6:7], v[22:23]
	v_pk_add_f32 v[6:7], v[6:7], v[22:23] neg_lo:[0,1] neg_hi:[0,1]
	s_mov_b32 s20, 0.5
	v_fmac_f32_e32 v2, -0.5, v36
	v_fmamk_f32 v38, v8, 0x3f5db3d7, v3
	v_fmamk_f32 v44, v28, 0x3f5db3d7, v11
	v_fmac_f32_e32 v11, 0xbf5db3d7, v28
	v_mul_u32_u24_e32 v28, 0x540, v112
	v_lshlrev_b32_e32 v43, 3, v16
	v_pk_mul_f32 v[6:7], v[6:7], s[10:11] op_sel_hi:[1,0]
	s_mov_b32 s11, s20
	v_fmamk_f32 v36, v9, 0xbf5db3d7, v2
	v_fmac_f32_e32 v10, -0.5, v42
	v_add3_u32 v37, 0, v28, v43
	v_pk_fma_f32 v[4:5], v[34:35], 0.5, v[4:5] op_sel_hi:[1,0,1] neg_lo:[1,0,0] neg_hi:[1,0,0]
	s_mov_b32 s21, s10
	v_pk_mul_f32 v[34:35], v[38:39], s[10:11] op_sel_hi:[0,1]
	v_fmamk_f32 v42, v29, 0xbf5db3d7, v10
	v_fmac_f32_e32 v10, 0x3f5db3d7, v29
	v_pk_add_f32 v[28:29], v[22:23], v[32:33]
	v_pk_add_f32 v[22:23], v[4:5], v[6:7] op_sel:[0,1] op_sel_hi:[1,0] neg_lo:[0,1] neg_hi:[0,1]
	v_pk_add_f32 v[4:5], v[4:5], v[6:7] op_sel:[0,1] op_sel_hi:[1,0]
	v_pk_fma_f32 v[38:39], v[36:37], s[20:21], v[34:35] neg_lo:[0,0,1] neg_hi:[0,0,1]
	v_pk_fma_f32 v[34:35], v[36:37], s[20:21], v[34:35] op_sel_hi:[0,1,1]
	v_fmac_f32_e32 v3, 0xbf5db3d7, v8
	v_mov_b32_e32 v6, v22
	v_mov_b32_e32 v7, v5
	;; [unrolled: 1-line block ×3, first 2 shown]
	v_pk_add_f32 v[32:33], v[26:27], v[28:29]
	v_pk_add_f32 v[34:35], v[6:7], v[38:39]
	v_mov_b32_e32 v22, v3
	s_mov_b32 s2, -0.5
	v_fmac_f32_e32 v2, 0x3f5db3d7, v9
	ds_write2_b64 v37, v[32:33], v[34:35] offset1:28
	s_mov_b32 s3, s10
	v_pk_mul_f32 v[32:33], v[22:23], s[10:11] op_sel_hi:[0,1]
	v_pk_fma_f32 v[2:3], v[2:3], s[2:3], v[32:33] op_sel_hi:[0,1,1] neg_lo:[0,0,1] neg_hi:[0,0,1]
	v_mov_b32_e32 v5, v23
	v_pk_add_f32 v[22:23], v[4:5], v[2:3]
	v_pk_add_f32 v[6:7], v[6:7], v[38:39] neg_lo:[0,1] neg_hi:[0,1]
	v_pk_add_f32 v[2:3], v[4:5], v[2:3] neg_lo:[0,1] neg_hi:[0,1]
	v_pk_add_f32 v[8:9], v[14:15], v[12:13]
	ds_write2_b64 v37, v[6:7], v[2:3] offset0:112 offset1:140
	v_mul_i32_i24_e32 v2, 0x540, v17
	v_add3_u32 v36, 0, v2, v43
	v_pk_add_f32 v[2:3], v[20:21], v[8:9]
	v_pk_add_f32 v[8:9], v[20:21], v[14:15]
	v_pk_add_f32 v[26:27], v[28:29], v[26:27] neg_lo:[0,1] neg_hi:[0,1]
	v_pk_fma_f32 v[8:9], v[8:9], 0.5, v[12:13] op_sel_hi:[1,0,1] neg_lo:[1,0,0] neg_hi:[1,0,0]
	v_pk_add_f32 v[12:13], v[14:15], v[20:21] neg_lo:[0,1] neg_hi:[0,1]
	v_pk_mul_f32 v[20:21], v[44:45], s[10:11] op_sel_hi:[0,1]
	v_pk_mul_f32 v[12:13], v[12:13], s[10:11] op_sel_hi:[1,0]
	ds_write2_b64 v37, v[22:23], v[26:27] offset0:56 offset1:84
	v_pk_add_f32 v[14:15], v[8:9], v[12:13] op_sel:[0,1] op_sel_hi:[1,0] neg_lo:[0,1] neg_hi:[0,1]
	v_pk_add_f32 v[8:9], v[8:9], v[12:13] op_sel:[0,1] op_sel_hi:[1,0]
	v_pk_fma_f32 v[22:23], v[42:43], s[20:21], v[20:21] neg_lo:[0,0,1] neg_hi:[0,0,1]
	v_pk_fma_f32 v[20:21], v[42:43], s[20:21], v[20:21] op_sel_hi:[0,1,1]
	v_pk_add_f32 v[4:5], v[24:25], v[40:41]
	v_mov_b32_e32 v12, v14
	v_mov_b32_e32 v13, v9
	;; [unrolled: 1-line block ×3, first 2 shown]
	v_pk_add_f32 v[6:7], v[4:5], v[2:3]
	v_pk_add_f32 v[20:21], v[12:13], v[22:23]
	ds_write2_b64 v36, v[6:7], v[20:21] offset1:28
	v_mov_b32_e32 v6, v11
	v_pk_mul_f32 v[6:7], v[6:7], s[10:11] op_sel_hi:[0,1]
	v_pk_fma_f32 v[6:7], v[10:11], s[2:3], v[6:7] op_sel_hi:[0,1,1] neg_lo:[0,0,1] neg_hi:[0,0,1]
	v_mov_b32_e32 v9, v15
	v_pk_add_f32 v[10:11], v[8:9], v[6:7]
	v_pk_add_f32 v[2:3], v[2:3], v[4:5] neg_lo:[0,1] neg_hi:[0,1]
	ds_write2_b64 v36, v[10:11], v[2:3] offset0:56 offset1:84
	v_pk_add_f32 v[2:3], v[12:13], v[22:23] neg_lo:[0,1] neg_hi:[0,1]
	v_pk_add_f32 v[4:5], v[8:9], v[6:7] neg_lo:[0,1] neg_hi:[0,1]
	s_movk_i32 s2, 0xab
	ds_write2_b64 v36, v[2:3], v[4:5] offset0:112 offset1:140
	v_mul_lo_u16_sdwa v2, v113, s2 dst_sel:DWORD dst_unused:UNUSED_PAD src0_sel:BYTE_0 src1_sel:DWORD
	v_lshrrev_b16_e32 v38, 10, v2
	v_mul_lo_u16_e32 v2, 6, v38
	v_sub_u16_e32 v2, v113, v2
	v_and_b32_e32 v39, 0xff, v2
	v_lshlrev_b32_e32 v2, 3, v39
	s_waitcnt lgkmcnt(0)
	s_barrier
	global_load_dwordx2 v[20:21], v2, s[18:19]
	v_mul_lo_u16_sdwa v2, v30, s2 dst_sel:DWORD dst_unused:UNUSED_PAD src0_sel:BYTE_0 src1_sel:DWORD
	v_lshrrev_b16_e32 v40, 10, v2
	v_mul_lo_u16_e32 v2, 6, v40
	v_sub_u16_e32 v2, v30, v2
	v_and_b32_e32 v41, 0xff, v2
	v_lshlrev_b32_e32 v2, 3, v41
	global_load_dwordx2 v[22:23], v2, s[18:19]
	v_mul_lo_u16_sdwa v2, v31, s2 dst_sel:DWORD dst_unused:UNUSED_PAD src0_sel:BYTE_0 src1_sel:DWORD
	v_lshrrev_b16_e32 v42, 10, v2
	v_mul_lo_u16_e32 v2, 6, v42
	v_sub_u16_e32 v2, v31, v2
	v_and_b32_e32 v44, 0xff, v2
	v_lshlrev_b32_e32 v2, 3, v44
	global_load_dwordx2 v[26:27], v2, s[18:19]
	v_mul_lo_u16_sdwa v2, v1, s2 dst_sel:DWORD dst_unused:UNUSED_PAD src0_sel:BYTE_0 src1_sel:DWORD
	v_lshrrev_b16_e32 v45, 10, v2
	v_mul_lo_u16_e32 v2, 6, v45
	v_sub_u16_e32 v2, v1, v2
	v_and_b32_e32 v46, 0xff, v2
	v_mul_lo_u16_sdwa v78, v17, s2 dst_sel:DWORD dst_unused:UNUSED_PAD src0_sel:BYTE_0 src1_sel:DWORD
	v_lshlrev_b32_e32 v2, 3, v46
	v_lshrrev_b16_e32 v47, 10, v78
	global_load_dwordx2 v[28:29], v2, s[18:19]
	v_mul_lo_u16_e32 v2, 6, v47
	v_sub_u16_e32 v2, v17, v2
	v_and_b32_e32 v48, 0xff, v2
	v_lshlrev_b32_e32 v2, 3, v48
	global_load_dwordx2 v[32:33], v2, s[18:19]
	v_mul_lo_u16_e32 v2, 43, v112
	v_lshrrev_b16_e32 v49, 8, v2
	v_mul_lo_u16_e32 v2, 6, v49
	v_sub_u16_e32 v50, v112, v2
	v_mov_b32_e32 v86, 3
	v_lshlrev_b32_sdwa v2, v86, v50 dst_sel:DWORD dst_unused:UNUSED_PAD src0_sel:DWORD src1_sel:BYTE_0
	global_load_dwordx2 v[34:35], v2, s[18:19]
	s_movk_i32 s2, 0xfba0
	v_mad_i32_i24 v2, v112, s2, v37
	v_mul_i32_i24_e32 v12, 0xe0, v31
	v_add3_u32 v51, 0, v12, v43
	v_add_u32_e32 v12, 0x4ec0, v2
	ds_read2_b64 v[12:15], v12 offset1:252
	v_mul_i32_i24_e32 v24, 0xe0, v30
	v_add3_u32 v52, 0, v24, v43
	v_mul_i32_i24_e32 v24, 0xe0, v113
	v_add_u32_e32 v3, 0x2f40, v2
	v_add3_u32 v53, 0, v24, v43
	ds_read2_b64 v[4:7], v3 offset1:252
	v_mad_i32_i24 v3, v17, s2, v36
	s_waitcnt lgkmcnt(1)
	v_mov_b32_e32 v30, v15
	s_movk_i32 s2, 0xe0
	v_add_u32_e32 v8, 0x3f00, v2
	ds_read2_b64 v[8:11], v8 offset1:252
	v_mul_i32_i24_e32 v1, 0xe0, v1
	v_add3_u32 v1, 0, v1, v43
	s_waitcnt vmcnt(5)
	v_pk_mul_f32 v[24:25], v[14:15], v[20:21]
	s_nop 0
	v_mov_b32_e32 v24, v25
	v_mov_b32_e32 v36, v21
	v_pk_fma_f32 v[24:25], v[14:15], v[20:21], v[24:25]
	v_pk_mul_f32 v[14:15], v[14:15], v[36:37]
	ds_read_b64 v[36:37], v52
	v_pk_fma_f32 v[14:15], v[30:31], v[20:21], v[14:15] neg_lo:[0,0,1] neg_hi:[0,0,1]
	v_mov_b32_e32 v20, v13
	v_mad_legacy_u16 v15, v49, 12, v50
	v_mul_u32_u24_sdwa v15, v15, s2 dst_sel:DWORD dst_unused:UNUSED_PAD src0_sel:BYTE_0 src1_sel:DWORD
	v_add3_u32 v49, 0, v15, v43
	v_mad_u32_u24 v15, v47, 12, v48
	v_mul_u32_u24_e32 v15, 0xe0, v15
	v_add3_u32 v47, 0, v15, v43
	v_mad_u32_u24 v15, v45, 12, v46
	s_waitcnt vmcnt(4)
	v_pk_mul_f32 v[30:31], v[22:23], v[12:13] op_sel_hi:[1,0]
	v_mul_u32_u24_e32 v15, 0xe0, v15
	v_pk_fma_f32 v[20:21], v[22:23], v[20:21], v[30:31] op_sel:[1,0,0] op_sel_hi:[0,1,1]
	v_pk_fma_f32 v[12:13], v[22:23], v[12:13], v[30:31] op_sel:[1,1,0] op_sel_hi:[0,1,1] neg_lo:[0,0,1] neg_hi:[0,0,1]
	v_add3_u32 v45, 0, v15, v43
	v_mad_u32_u24 v15, v42, 12, v44
	v_mov_b32_e32 v21, v13
	ds_read_b64 v[12:13], v53
	v_mul_u32_u24_e32 v15, 0xe0, v15
	v_add3_u32 v42, 0, v15, v43
	v_mad_u32_u24 v15, v40, 12, v41
	v_mul_u32_u24_e32 v15, 0xe0, v15
	v_add3_u32 v40, 0, v15, v43
	v_mad_u32_u24 v15, v38, 12, v39
	ds_read_b64 v[30:31], v51
	v_mul_u32_u24_e32 v15, 0xe0, v15
	v_mov_b32_e32 v25, v14
	s_waitcnt lgkmcnt(2)
	v_pk_add_f32 v[20:21], v[36:37], v[20:21] neg_lo:[0,1] neg_hi:[0,1]
	v_add3_u32 v38, 0, v15, v43
	s_waitcnt lgkmcnt(1)
	v_pk_add_f32 v[22:23], v[12:13], v[24:25] neg_lo:[0,1] neg_hi:[0,1]
	s_waitcnt vmcnt(3)
	v_pk_mul_f32 v[14:15], v[26:27], v[10:11] op_sel:[0,1]
	v_pk_fma_f32 v[24:25], v[12:13], 2.0, v[22:23] op_sel_hi:[1,0,1] neg_lo:[0,0,1] neg_hi:[0,0,1]
	v_pk_fma_f32 v[12:13], v[36:37], 2.0, v[20:21] op_sel_hi:[1,0,1] neg_lo:[0,0,1] neg_hi:[0,0,1]
	v_pk_fma_f32 v[36:37], v[26:27], v[10:11], v[14:15] op_sel:[0,0,1] op_sel_hi:[1,1,0]
	v_pk_fma_f32 v[10:11], v[26:27], v[10:11], v[14:15] op_sel:[0,0,1] op_sel_hi:[1,0,0] neg_lo:[1,0,0] neg_hi:[1,0,0]
	s_movk_i32 s2, 0x54
	v_mov_b32_e32 v37, v11
	ds_read_b64 v[10:11], v1
	s_waitcnt lgkmcnt(1)
	v_pk_add_f32 v[14:15], v[30:31], v[36:37] neg_lo:[0,1] neg_hi:[0,1]
	v_cmp_gt_u32_e64 s[2:3], s2, v0
	v_pk_fma_f32 v[26:27], v[30:31], 2.0, v[14:15] op_sel_hi:[1,0,1] neg_lo:[0,0,1] neg_hi:[0,0,1]
	s_waitcnt vmcnt(2)
	v_pk_mul_f32 v[30:31], v[28:29], v[8:9] op_sel:[0,1]
	s_nop 0
	v_pk_fma_f32 v[36:37], v[28:29], v[8:9], v[30:31] op_sel:[0,0,1] op_sel_hi:[1,1,0]
	v_pk_fma_f32 v[8:9], v[28:29], v[8:9], v[30:31] op_sel:[0,0,1] op_sel_hi:[1,0,0] neg_lo:[1,0,0] neg_hi:[1,0,0]
	s_waitcnt vmcnt(1)
	v_pk_mul_f32 v[30:31], v[32:33], v[6:7] op_sel:[0,1]
	v_mov_b32_e32 v37, v9
	ds_read_b64 v[8:9], v3
	s_waitcnt lgkmcnt(1)
	v_pk_add_f32 v[28:29], v[10:11], v[36:37] neg_lo:[0,1] neg_hi:[0,1]
	v_pk_fma_f32 v[36:37], v[32:33], v[6:7], v[30:31] op_sel:[0,0,1] op_sel_hi:[1,1,0]
	v_pk_fma_f32 v[6:7], v[32:33], v[6:7], v[30:31] op_sel:[0,0,1] op_sel_hi:[1,0,0] neg_lo:[1,0,0] neg_hi:[1,0,0]
	s_waitcnt vmcnt(0)
	v_pk_mul_f32 v[32:33], v[34:35], v[4:5] op_sel:[0,1]
	v_mov_b32_e32 v37, v7
	ds_read_b64 v[6:7], v2
	s_waitcnt lgkmcnt(1)
	v_pk_add_f32 v[30:31], v[8:9], v[36:37] neg_lo:[0,1] neg_hi:[0,1]
	v_pk_fma_f32 v[36:37], v[34:35], v[4:5], v[32:33] op_sel:[0,0,1] op_sel_hi:[1,1,0]
	v_pk_fma_f32 v[4:5], v[34:35], v[4:5], v[32:33] op_sel:[0,0,1] op_sel_hi:[1,0,0] neg_lo:[1,0,0] neg_hi:[1,0,0]
	v_pk_fma_f32 v[10:11], v[10:11], 2.0, v[28:29] op_sel_hi:[1,0,1] neg_lo:[0,0,1] neg_hi:[0,0,1]
	v_mov_b32_e32 v37, v5
	s_waitcnt lgkmcnt(0)
	v_pk_add_f32 v[4:5], v[6:7], v[36:37] neg_lo:[0,1] neg_hi:[0,1]
	v_pk_fma_f32 v[8:9], v[8:9], 2.0, v[30:31] op_sel_hi:[1,0,1] neg_lo:[0,0,1] neg_hi:[0,0,1]
	v_pk_fma_f32 v[6:7], v[6:7], 2.0, v[4:5] op_sel_hi:[1,0,1] neg_lo:[0,0,1] neg_hi:[0,0,1]
	s_barrier
	ds_write2_b64 v49, v[6:7], v[4:5] offset1:168
	ds_write2_b64 v47, v[8:9], v[30:31] offset1:168
	ds_write2_b64 v45, v[10:11], v[28:29] offset1:168
	ds_write2_b64 v42, v[26:27], v[14:15] offset1:168
	ds_write2_b64 v40, v[12:13], v[20:21] offset1:168
	ds_write2_b64 v38, v[24:25], v[22:23] offset1:168
	s_waitcnt lgkmcnt(0)
	s_barrier
	ds_read_b64 v[52:53], v52
	ds_read_b64 v[42:43], v2
	ds_read_b64 v[50:51], v2 offset:2688
	ds_read_b64 v[48:49], v2 offset:5376
	;; [unrolled: 1-line block ×7, first 2 shown]
                                        ; implicit-def: $vgpr35
                                        ; implicit-def: $vgpr33
                                        ; implicit-def: $vgpr27
                                        ; implicit-def: $vgpr29
                                        ; implicit-def: $vgpr31
                                        ; implicit-def: $vgpr37
	s_and_saveexec_b64 s[20:21], s[2:3]
	s_cbranch_execz .LBB0_12
; %bb.11:
	ds_read_b64 v[20:21], v3
	ds_read_b64 v[24:25], v2 offset:4704
	ds_read_b64 v[22:23], v2 offset:7392
	;; [unrolled: 1-line block ×8, first 2 shown]
.LBB0_12:
	s_or_b64 exec, exec, s[20:21]
	v_mul_lo_u16_e32 v0, 22, v112
	v_mov_b32_e32 v1, 12
	v_mul_lo_u16_sdwa v0, v0, v1 dst_sel:DWORD dst_unused:UNUSED_PAD src0_sel:BYTE_1 src1_sel:DWORD
	s_load_dwordx2 s[0:1], s[0:1], 0x8
	v_sub_u16_e32 v0, v112, v0
	v_and_b32_e32 v114, 0xff, v0
	v_mul_lo_u32 v8, v18, v114
	v_add_u32_e32 v116, 12, v114
	v_lshlrev_b32_e32 v72, 6, v114
	v_lshlrev_b32_sdwa v9, v86, v8 dst_sel:DWORD dst_unused:UNUSED_PAD src0_sel:DWORD src1_sel:BYTE_0
	v_mul_lo_u32 v11, v18, v116
	global_load_dwordx4 v[4:7], v72, s[18:19] offset:64
	global_load_dwordx4 v[0:3], v72, s[18:19] offset:48
	v_add_u32_e32 v115, 24, v114
	v_lshlrev_b32_sdwa v10, v86, v8 dst_sel:DWORD dst_unused:UNUSED_PAD src0_sel:DWORD src1_sel:BYTE_1
	s_waitcnt lgkmcnt(0)
	global_load_dwordx2 v[60:61], v9, s[0:1]
	global_load_dwordx2 v[62:63], v10, s[0:1] offset:2048
	v_lshlrev_b32_sdwa v9, v86, v11 dst_sel:DWORD dst_unused:UNUSED_PAD src0_sel:DWORD src1_sel:BYTE_0
	v_lshlrev_b32_sdwa v10, v86, v11 dst_sel:DWORD dst_unused:UNUSED_PAD src0_sel:DWORD src1_sel:BYTE_1
	global_load_dwordx2 v[56:57], v9, s[0:1]
	global_load_dwordx2 v[58:59], v10, s[0:1] offset:2048
	v_mul_lo_u32 v9, v18, v115
	v_mov_b32_e32 v87, 0x1000
	v_bfe_u32 v8, v8, 16, 8
	v_lshlrev_b32_sdwa v10, v86, v9 dst_sel:DWORD dst_unused:UNUSED_PAD src0_sel:DWORD src1_sel:BYTE_0
	v_lshl_or_b32 v8, v8, 3, v87
	v_lshlrev_b32_sdwa v12, v86, v9 dst_sel:DWORD dst_unused:UNUSED_PAD src0_sel:DWORD src1_sel:BYTE_1
	global_load_dwordx2 v[64:65], v10, s[0:1]
	global_load_dwordx2 v[66:67], v12, s[0:1] offset:2048
	global_load_dwordx2 v[70:71], v8, s[0:1]
	v_bfe_u32 v8, v11, 16, 8
	v_lshl_or_b32 v8, v8, 3, v87
	global_load_dwordx2 v[68:69], v8, s[0:1]
	v_bfe_u32 v8, v9, 16, 8
	v_lshl_or_b32 v73, v8, 3, v87
	global_load_dwordx2 v[76:77], v73, s[0:1]
	global_load_dwordx4 v[12:15], v72, s[18:19] offset:80
	global_load_dwordx4 v[8:11], v72, s[18:19] offset:96
	v_add_u32_e32 v117, 36, v114
	v_or_b32_e32 v72, 48, v114
	v_mul_lo_u32 v73, v18, v117
	v_mul_lo_u32 v72, v18, v72
	v_lshlrev_b32_sdwa v79, v86, v73 dst_sel:DWORD dst_unused:UNUSED_PAD src0_sel:DWORD src1_sel:BYTE_0
	v_lshlrev_b32_sdwa v81, v86, v73 dst_sel:DWORD dst_unused:UNUSED_PAD src0_sel:DWORD src1_sel:BYTE_1
	v_bfe_u32 v73, v73, 16, 8
	v_lshlrev_b32_sdwa v90, v86, v72 dst_sel:DWORD dst_unused:UNUSED_PAD src0_sel:DWORD src1_sel:BYTE_0
	v_bfe_u32 v82, v72, 16, 8
	v_lshlrev_b32_sdwa v91, v86, v72 dst_sel:DWORD dst_unused:UNUSED_PAD src0_sel:DWORD src1_sel:BYTE_1
	v_lshl_or_b32 v98, v73, 3, v87
	global_load_dwordx2 v[72:73], v79, s[0:1]
	global_load_dwordx2 v[74:75], v81, s[0:1] offset:2048
	v_lshl_or_b32 v79, v82, 3, v87
	global_load_dwordx2 v[82:83], v90, s[0:1]
	global_load_dwordx2 v[84:85], v91, s[0:1] offset:2048
	global_load_dwordx2 v[88:89], v79, s[0:1]
	v_mov_b32_e32 v80, v49
	s_mov_b32 s28, 0xbf248dbb
	s_mov_b32 s22, 0x3f441b7d
	;; [unrolled: 1-line block ×5, first 2 shown]
	v_add_u32_e32 v118, 60, v114
	v_add_u32_e32 v119, 0x48, v114
	s_andn2_b64 vcc, exec, s[4:5]
	s_waitcnt vmcnt(17)
	v_pk_mul_f32 v[90:91], v[4:5], v[52:53] op_sel:[0,1]
	v_pk_mul_f32 v[92:93], v[6:7], v[54:55] op_sel:[0,1]
	s_waitcnt vmcnt(16)
	v_pk_mul_f32 v[94:95], v[0:1], v[50:51] op_sel:[0,1]
	v_pk_fma_f32 v[96:97], v[4:5], v[52:53], v[90:91] op_sel:[0,0,1] op_sel_hi:[1,1,0]
	v_pk_fma_f32 v[4:5], v[4:5], v[52:53], v[90:91] op_sel:[0,0,1] op_sel_hi:[1,0,0] neg_lo:[1,0,0] neg_hi:[1,0,0]
	v_pk_fma_f32 v[52:53], v[6:7], v[54:55], v[92:93] op_sel:[0,0,1] op_sel_hi:[1,1,0]
	v_pk_fma_f32 v[6:7], v[6:7], v[54:55], v[92:93] op_sel:[0,0,1] op_sel_hi:[1,0,0] neg_lo:[1,0,0] neg_hi:[1,0,0]
	v_mov_b32_e32 v54, v3
	v_mov_b32_e32 v55, v2
	v_pk_mul_f32 v[2:3], v[2:3], v[48:49] op_sel_hi:[1,0]
	v_pk_fma_f32 v[90:91], v[0:1], v[50:51], v[94:95] op_sel:[0,0,1] op_sel_hi:[1,1,0]
	v_pk_fma_f32 v[0:1], v[0:1], v[50:51], v[94:95] op_sel:[0,0,1] op_sel_hi:[1,0,0] neg_lo:[1,0,0] neg_hi:[1,0,0]
	v_pk_fma_f32 v[50:51], v[54:55], v[80:81], v[2:3]
	v_pk_fma_f32 v[2:3], v[54:55], v[48:49], v[2:3] op_sel:[0,1,0] neg_lo:[0,0,1] neg_hi:[0,0,1]
	s_waitcnt vmcnt(14)
	v_pk_mul_f32 v[48:49], v[60:61], v[62:63] op_sel:[1,0] op_sel_hi:[0,1]
	v_mul_f32_e32 v0, v60, v62
	s_waitcnt vmcnt(12)
	v_mul_f32_e32 v53, v56, v59
	v_mov_b32_e32 v91, v1
	v_add_f32_e32 v1, v48, v49
	s_waitcnt vmcnt(10)
	v_mul_f32_e32 v6, v64, v66
	v_fma_f32 v0, -v61, v63, v0
	v_mul_f32_e32 v4, v57, v59
	v_fmac_f32_e32 v53, v57, v58
	v_fma_f32 v54, -v65, v67, v6
	s_waitcnt vmcnt(9)
	v_mul_f32_e32 v6, v1, v71
	v_fma_f32 v48, v56, v58, -v4
	v_mul_f32_e32 v4, v0, v71
	v_fma_f32 v6, v70, v0, -v6
	s_waitcnt vmcnt(8)
	v_mul_f32_e32 v0, v53, v69
	v_fmac_f32_e32 v4, v70, v1
	v_fma_f32 v79, v68, v48, -v0
	global_load_dwordx2 v[0:1], v98, s[0:1]
	v_mov_b32_e32 v51, v3
	v_pk_mul_f32 v[2:3], v[64:65], v[66:67] op_sel:[1,0] op_sel_hi:[0,1]
	v_add_f32_e32 v2, v2, v3
	s_waitcnt vmcnt(8)
	v_mul_f32_e32 v49, v54, v77
	v_fmac_f32_e32 v49, v76, v2
	v_mul_f32_e32 v2, v2, v77
	v_fma_f32 v54, v76, v54, -v2
	s_waitcnt vmcnt(7)
	v_pk_mul_f32 v[2:3], v[12:13], v[46:47] op_sel:[0,1]
	v_mov_b32_e32 v97, v5
	v_pk_fma_f32 v[56:57], v[12:13], v[46:47], v[2:3] op_sel:[0,0,1] op_sel_hi:[1,1,0]
	v_pk_fma_f32 v[2:3], v[12:13], v[46:47], v[2:3] op_sel:[0,0,1] op_sel_hi:[1,0,0] neg_lo:[1,0,0] neg_hi:[1,0,0]
	v_mul_f32_e32 v71, v48, v69
	v_mov_b32_e32 v57, v3
	v_pk_mul_f32 v[2:3], v[14:15], v[44:45] op_sel:[0,1]
	v_fmac_f32_e32 v71, v68, v53
	v_pk_fma_f32 v[12:13], v[14:15], v[44:45], v[2:3] op_sel:[0,0,1] op_sel_hi:[1,1,0]
	v_pk_fma_f32 v[2:3], v[14:15], v[44:45], v[2:3] op_sel:[0,0,1] op_sel_hi:[1,0,0] neg_lo:[1,0,0] neg_hi:[1,0,0]
	s_waitcnt vmcnt(6)
	v_pk_mul_f32 v[14:15], v[8:9], v[40:41] op_sel_hi:[1,0]
	v_mov_b32_e32 v2, v41
	v_mov_b32_e32 v13, v3
	v_pk_fma_f32 v[2:3], v[8:9], v[2:3], v[14:15] op_sel:[1,0,0] op_sel_hi:[0,1,1]
	v_pk_fma_f32 v[8:9], v[8:9], v[40:41], v[14:15] op_sel:[1,1,0] op_sel_hi:[0,1,1] neg_lo:[0,0,1] neg_hi:[0,0,1]
	v_mov_b32_e32 v3, v9
	v_pk_mul_f32 v[8:9], v[10:11], v[38:39] op_sel:[0,1]
	v_pk_add_f32 v[44:45], v[96:97], v[12:13]
	v_pk_fma_f32 v[14:15], v[10:11], v[38:39], v[8:9] op_sel:[0,0,1] op_sel_hi:[1,1,0]
	v_pk_fma_f32 v[8:9], v[10:11], v[38:39], v[8:9] op_sel:[0,0,1] op_sel_hi:[1,0,0] neg_lo:[1,0,0] neg_hi:[1,0,0]
	v_pk_add_f32 v[10:11], v[50:51], v[2:3]
	v_mov_b32_e32 v15, v9
	v_pk_add_f32 v[8:9], v[90:91], v[14:15]
	v_mov_b32_e32 v53, v7
	v_pk_add_f32 v[58:59], v[10:11], v[8:9]
	v_pk_add_f32 v[2:3], v[50:51], v[2:3] neg_lo:[0,1] neg_hi:[0,1]
	v_pk_add_f32 v[38:39], v[44:45], v[58:59]
	v_pk_add_f32 v[46:47], v[52:53], v[56:57] neg_lo:[0,1] neg_hi:[0,1]
	v_pk_add_f32 v[38:39], v[52:53], v[38:39]
	v_pk_add_f32 v[50:51], v[52:53], v[56:57]
	;; [unrolled: 1-line block ×3, first 2 shown]
	v_pk_add_f32 v[14:15], v[90:91], v[14:15] neg_lo:[0,1] neg_hi:[0,1]
	v_pk_add_f32 v[40:41], v[42:43], v[38:39]
	v_pk_add_f32 v[12:13], v[96:97], v[12:13] neg_lo:[0,1] neg_hi:[0,1]
	v_pk_mul_f32 v[4:5], v[40:41], v[4:5] op_sel_hi:[1,0]
	v_pk_mul_f32 v[12:13], v[12:13], s[10:11] op_sel_hi:[1,0]
	v_pk_fma_f32 v[38:39], v[40:41], v[6:7], v[4:5] op_sel:[0,0,1] op_sel_hi:[1,1,0]
	v_pk_fma_f32 v[4:5], v[40:41], v[6:7], v[4:5] op_sel:[0,0,1] op_sel_hi:[1,0,0] neg_lo:[0,0,1] neg_hi:[0,0,1]
	v_pk_mul_f32 v[6:7], v[46:47], s[28:29] op_sel:[1,0] op_sel_hi:[0,0]
	v_pk_fma_f32 v[40:41], v[50:51], s[22:23], v[42:43] op_sel_hi:[1,0,1]
	v_pk_fma_f32 v[6:7], v[14:15], s[26:27], v[6:7] op_sel:[1,0,0] op_sel_hi:[0,0,1]
	v_pk_fma_f32 v[40:41], v[8:9], s[24:25], v[40:41] op_sel_hi:[1,0,1]
	s_mov_b32 s10, 0x3eaf1d44
	v_pk_add_f32 v[6:7], v[6:7], v[12:13] op_sel:[0,1] op_sel_hi:[1,0] neg_lo:[0,1] neg_hi:[0,1]
	v_pk_fma_f32 v[40:41], v[44:45], 0.5, v[40:41] op_sel_hi:[1,0,1] neg_lo:[1,0,0] neg_hi:[1,0,0]
	v_pk_fma_f32 v[6:7], v[2:3], s[10:11], v[6:7] op_sel:[1,0,0] op_sel_hi:[0,0,1]
	v_pk_fma_f32 v[40:41], v[10:11], s[20:21], v[40:41] op_sel_hi:[1,0,1] neg_lo:[1,0,0] neg_hi:[1,0,0]
	s_waitcnt vmcnt(2)
	v_pk_mul_f32 v[60:61], v[82:83], v[84:85] op_sel:[1,0] op_sel_hi:[0,1]
	v_pk_add_f32 v[52:53], v[40:41], v[6:7] neg_lo:[0,1] neg_hi:[0,1]
	v_pk_add_f32 v[56:57], v[40:41], v[6:7]
	v_mov_b32_e32 v40, v49
	v_mov_b32_e32 v48, v57
	;; [unrolled: 1-line block ×3, first 2 shown]
	v_pk_mul_f32 v[48:49], v[48:49], v[40:41]
	v_mov_b32_e32 v56, v52
	v_pk_fma_f32 v[40:41], v[52:53], v[54:55], v[48:49]
	v_pk_fma_f32 v[48:49], v[56:57], v[54:55], v[48:49] op_sel_hi:[1,0,1] neg_lo:[0,0,1] neg_hi:[0,0,1]
	v_mul_lo_u32 v41, v18, v118
	v_lshlrev_b32_sdwa v4, v86, v41 dst_sel:DWORD dst_unused:UNUSED_PAD src0_sel:DWORD src1_sel:BYTE_0
	v_fma_f32 v91, -2.0, v7, v57
	global_load_dwordx2 v[56:57], v4, s[0:1]
	v_mul_f32_e32 v4, v82, v84
	v_fma_f32 v4, -v83, v85, v4
	v_fma_f32 v90, 2.0, v6, v52
	v_add_f32_e32 v6, v60, v61
	s_waitcnt vmcnt(2)
	v_mul_f32_e32 v61, v4, v89
	v_fmac_f32_e32 v61, v88, v6
	v_mul_f32_e32 v6, v6, v89
	v_fma_f32 v4, v88, v4, -v6
	v_mul_f32_e32 v6, 0x3f248dbb, v14
	v_mul_f32_e32 v39, 0x3f248dbb, v15
	v_pk_mul_f32 v[62:63], v[46:47], s[26:27] op_sel:[1,0] op_sel_hi:[0,0]
	v_fmac_f32_e32 v6, 0x3f7c1c5c, v2
	v_fmac_f32_e32 v39, 0x3f7c1c5c, v3
	v_pk_fma_f32 v[62:63], v[2:3], s[28:29], v[62:63] op_sel:[1,0,0] op_sel_hi:[0,0,1] neg_lo:[0,0,1] neg_hi:[0,0,1]
	v_add_f32_e32 v80, v12, v6
	v_add_f32_e32 v81, v13, v39
	v_pk_add_f32 v[12:13], v[12:13], v[62:63] op_sel:[1,0] op_sel_hi:[0,1]
	v_fmac_f32_e32 v80, 0x3eaf1d44, v46
	v_fmac_f32_e32 v81, 0x3eaf1d44, v47
	v_pk_add_f32 v[46:47], v[46:47], v[14:15] op_sel:[1,1] op_sel_hi:[0,0]
	v_pk_fma_f32 v[12:13], v[14:15], s[10:11], v[12:13] op_sel:[1,0,0] op_sel_hi:[0,0,1]
	v_pk_fma_f32 v[14:15], v[10:11], s[22:23], v[42:43] op_sel_hi:[1,0,1]
	v_mov_b32_e32 v39, v5
	v_pk_fma_f32 v[14:15], v[50:51], s[24:25], v[14:15] op_sel_hi:[1,0,1]
	v_fmamk_f32 v5, v8, 0x3f441b7d, v42
	v_pk_fma_f32 v[14:15], v[44:45], 0.5, v[14:15] op_sel_hi:[1,0,1] neg_lo:[1,0,0] neg_hi:[1,0,0]
	v_fmamk_f32 v6, v9, 0x3f441b7d, v43
	v_pk_fma_f32 v[14:15], v[8:9], s[20:21], v[14:15] op_sel_hi:[1,0,1] neg_lo:[1,0,0] neg_hi:[1,0,0]
	v_fmac_f32_e32 v5, 0x3e31d0d4, v10
	v_fmac_f32_e32 v6, 0x3e31d0d4, v11
	v_pk_mul_f32 v[8:9], v[44:45], 0.5 op_sel_hi:[1,0]
	v_pk_add_f32 v[10:11], v[14:15], v[12:13]
	v_sub_f32_e32 v5, v5, v8
	v_sub_f32_e32 v52, v6, v9
	v_pk_add_f32 v[8:9], v[14:15], v[12:13] neg_lo:[0,1] neg_hi:[0,1]
	v_pk_add_f32 v[14:15], v[46:47], v[2:3] op_sel:[0,1] op_sel_hi:[1,0] neg_lo:[0,1] neg_hi:[0,1]
	v_lshlrev_b32_sdwa v3, v86, v41 dst_sel:DWORD dst_unused:UNUSED_PAD src0_sel:DWORD src1_sel:BYTE_1
	v_fma_f32 v82, 2.0, v12, v8
	v_fma_f32 v83, -2.0, v13, v11
	v_pk_add_f32 v[12:13], v[50:51], v[58:59]
	v_fmac_f32_e32 v5, 0xbf708fb2, v50
	v_fmac_f32_e32 v52, 0xbf708fb2, v51
	global_load_dwordx2 v[50:51], v3, s[0:1] offset:2048
	v_bfe_u32 v3, v41, 16, 8
	v_mul_f32_e32 v7, v73, v74
	v_mul_f32_e32 v55, v72, v75
	v_mov_b32_e32 v6, v45
	v_mov_b32_e32 v54, v43
	v_lshl_or_b32 v3, v3, 3, v87
	v_pk_add_f32 v[6:7], v[6:7], v[54:55]
	global_load_dwordx2 v[54:55], v3, s[0:1]
	v_mul_lo_u32 v3, v18, v119
	v_lshlrev_b32_sdwa v10, v86, v3 dst_sel:DWORD dst_unused:UNUSED_PAD src0_sel:DWORD src1_sel:BYTE_0
	v_pk_add_f32 v[44:45], v[44:45], v[42:43]
	v_mul_f32_e32 v42, 0.5, v13
	v_lshlrev_b32_sdwa v13, v86, v3 dst_sel:DWORD dst_unused:UNUSED_PAD src0_sel:DWORD src1_sel:BYTE_1
	global_load_dwordx2 v[62:63], v10, s[0:1]
	global_load_dwordx2 v[64:65], v13, s[0:1] offset:2048
	v_bfe_u32 v3, v3, 16, 8
	v_lshl_or_b32 v3, v3, 3, v87
	global_load_dwordx2 v[66:67], v3, s[0:1]
	v_add_u32_e32 v3, 0x54, v114
	s_waitcnt vmcnt(6)
	v_mov_b32_e32 v43, v0
	v_mul_lo_u32 v3, v18, v3
	v_pk_add_f32 v[58:59], v[6:7], v[42:43] neg_lo:[0,1] neg_hi:[0,1]
	v_pk_mul_f32 v[42:43], v[6:7], v[42:43]
	v_lshlrev_b32_sdwa v6, v86, v3 dst_sel:DWORD dst_unused:UNUSED_PAD src0_sel:DWORD src1_sel:BYTE_0
	v_mov_b32_e32 v59, v43
	v_lshlrev_b32_sdwa v10, v86, v3 dst_sel:DWORD dst_unused:UNUSED_PAD src0_sel:DWORD src1_sel:BYTE_1
	global_load_dwordx2 v[42:43], v6, s[0:1]
	global_load_dwordx2 v[68:69], v10, s[0:1] offset:2048
	v_bfe_u32 v3, v3, 16, 8
	v_lshl_or_b32 v3, v3, 3, v87
	global_load_dwordx2 v[76:77], v3, s[0:1]
	v_or_b32_e32 v6, 0x60, v114
	v_mul_f32_e32 v48, v73, v75
	v_mul_lo_u32 v6, v18, v6
	v_mul_f32_e32 v53, v72, v74
	v_add_f32_e32 v88, v80, v52
	v_mov_b32_e32 v52, v47
	v_mov_b32_e32 v3, v48
	v_lshlrev_b32_sdwa v13, v86, v6 dst_sel:DWORD dst_unused:UNUSED_PAD src0_sel:DWORD src1_sel:BYTE_0
	v_lshlrev_b32_sdwa v47, v86, v6 dst_sel:DWORD dst_unused:UNUSED_PAD src0_sel:DWORD src1_sel:BYTE_1
	v_mov_b32_e32 v41, v49
	v_pk_add_f32 v[2:3], v[52:53], v[2:3] neg_lo:[0,1] neg_hi:[0,1]
	global_load_dwordx2 v[48:49], v13, s[0:1]
	global_load_dwordx2 v[52:53], v47, s[0:1] offset:2048
	v_mov_b32_e32 v47, v1
	v_bfe_u32 v1, v6, 16, 8
	v_lshl_or_b32 v1, v1, 3, v87
	global_load_dwordx2 v[84:85], v1, s[0:1]
	v_mul_f32_e32 v12, 0.5, v12
	v_mov_b32_e32 v13, v0
	v_pk_add_f32 v[0:1], v[44:45], v[12:13] neg_lo:[0,1] neg_hi:[0,1]
	v_pk_mul_f32 v[12:13], v[2:3], v[12:13]
	v_mov_b32_e32 v46, 0x3f5db3d7
	v_mov_b32_e32 v6, v14
	v_mov_b32_e32 v1, v13
	v_pk_mul_f32 v[72:73], v[2:3], v[46:47]
	v_pk_fma_f32 v[0:1], v[6:7], v[46:47], v[0:1] neg_lo:[1,0,0] neg_hi:[1,0,0]
	v_pk_fma_f32 v[2:3], v[2:3], v[46:47], v[58:59]
	v_pk_mul_f32 v[14:15], v[14:15], v[46:47]
	v_mov_b32_e32 v12, v3
	v_mov_b32_e32 v13, v0
	v_sub_f32_e32 v5, v5, v81
	v_fma_f32 v15, -2.0, v72, v2
	v_mov_b32_e32 v6, v1
	v_mov_b32_e32 v7, v2
	v_pk_mul_f32 v[2:3], v[2:3], v[12:13]
	v_mul_f32_e32 v10, v5, v71
	v_fma_f32 v14, 2.0, v14, v0
	v_pk_fma_f32 v[72:73], v[0:1], v[6:7], v[2:3]
	v_pk_fma_f32 v[0:1], v[0:1], v[6:7], v[2:3] neg_lo:[0,0,1] neg_hi:[0,0,1]
	v_mov_b32_e32 v60, v11
	v_mov_b32_e32 v2, v61
	;; [unrolled: 1-line block ×3, first 2 shown]
	v_mul_f32_e32 v70, v88, v71
	v_pk_mul_f32 v[2:3], v[60:61], v[2:3]
	v_fma_f32 v71, v88, v79, -v10
	v_mov_b32_e32 v10, v8
	v_pk_fma_f32 v[74:75], v[8:9], v[4:5], v[2:3]
	v_pk_fma_f32 v[2:3], v[10:11], v[4:5], v[2:3] op_sel_hi:[1,0,1] neg_lo:[0,0,1] neg_hi:[0,0,1]
	v_mov_b32_e32 v73, v1
	v_mov_b32_e32 v75, v3
	v_fmac_f32_e32 v70, v5, v79
	s_waitcnt vmcnt(10)
	v_mul_f32_e32 v3, v56, v51
	v_mul_f32_e32 v1, v57, v51
	v_fmac_f32_e32 v3, v57, v50
	v_fma_f32 v0, 2.0, v81, v5
	v_fma_f32 v1, v56, v50, -v1
	v_lshrrev_b16_e32 v2, 11, v78
	v_fma_f32 v4, -2.0, v80, v88
	v_mul_lo_u16_e32 v2, 12, v2
	s_waitcnt vmcnt(9)
	v_mul_f32_e32 v5, v3, v55
	v_fma_f32 v5, v54, v1, -v5
	v_mul_f32_e32 v1, v1, v55
	v_fmac_f32_e32 v1, v54, v3
	v_mul_f32_e32 v78, v83, v1
	v_mul_f32_e32 v1, v82, v1
	s_waitcnt vmcnt(7)
	v_mul_f32_e32 v3, v62, v65
	v_fma_f32 v79, v83, v5, -v1
	v_mul_f32_e32 v1, v63, v65
	v_fmac_f32_e32 v3, v63, v64
	v_fmac_f32_e32 v78, v82, v5
	v_fma_f32 v1, v62, v64, -v1
	s_waitcnt vmcnt(6)
	v_mul_f32_e32 v5, v3, v67
	v_fma_f32 v5, v66, v1, -v5
	v_mul_f32_e32 v1, v1, v67
	v_fmac_f32_e32 v1, v66, v3
	v_mul_f32_e32 v80, v15, v1
	v_mul_f32_e32 v1, v14, v1
	s_waitcnt vmcnt(4)
	v_mul_f32_e32 v3, v42, v69
	v_fma_f32 v81, v15, v5, -v1
	v_mul_f32_e32 v1, v43, v69
	v_fmac_f32_e32 v3, v43, v68
	v_fmac_f32_e32 v80, v14, v5
	v_fma_f32 v1, v42, v68, -v1
	s_waitcnt vmcnt(3)
	v_mul_f32_e32 v5, v3, v77
	v_fma_f32 v5, v76, v1, -v5
	v_mul_f32_e32 v1, v1, v77
	v_sub_u16_e32 v2, v17, v2
	v_fmac_f32_e32 v1, v76, v3
	v_and_b32_e32 v2, 0xff, v2
	v_mul_f32_e32 v82, v91, v1
	v_mul_f32_e32 v1, v90, v1
	v_fma_f32 v83, v91, v5, -v1
	v_mul_lo_u32 v1, v18, v2
	v_fmac_f32_e32 v82, v90, v5
	v_lshlrev_b32_sdwa v3, v86, v1 dst_sel:DWORD dst_unused:UNUSED_PAD src0_sel:DWORD src1_sel:BYTE_0
	s_waitcnt vmcnt(1)
	v_mul_f32_e32 v5, v48, v53
	global_load_dwordx2 v[76:77], v3, s[0:1]
	v_mul_f32_e32 v3, v49, v53
	v_fmac_f32_e32 v5, v49, v52
	v_fma_f32 v3, v48, v52, -v3
	s_waitcnt vmcnt(1)
	v_mul_f32_e32 v6, v5, v85
	v_add_u32_e32 v42, 60, v2
	v_fma_f32 v6, v84, v3, -v6
	v_mul_f32_e32 v3, v3, v85
	v_mul_lo_u32 v42, v18, v42
	v_fmac_f32_e32 v3, v84, v5
	v_lshlrev_b32_sdwa v43, v86, v42 dst_sel:DWORD dst_unused:UNUSED_PAD src0_sel:DWORD src1_sel:BYTE_0
	v_lshlrev_b32_sdwa v54, v86, v42 dst_sel:DWORD dst_unused:UNUSED_PAD src0_sel:DWORD src1_sel:BYTE_1
	v_bfe_u32 v42, v42, 16, 8
	v_mul_f32_e32 v84, v4, v3
	v_lshl_or_b32 v55, v42, 3, v87
	v_add_u32_e32 v42, 0x48, v2
	v_fmac_f32_e32 v84, v0, v6
	v_mul_f32_e32 v0, v0, v3
	v_mul_lo_u32 v42, v18, v42
	v_fma_f32 v85, v4, v6, -v0
	v_add_u32_e32 v3, 12, v2
	v_add_u32_e32 v6, 24, v2
	v_add_u32_e32 v9, 36, v2
	v_or_b32_e32 v13, 48, v2
	v_lshlrev_b32_sdwa v120, v86, v42 dst_sel:DWORD dst_unused:UNUSED_PAD src0_sel:DWORD src1_sel:BYTE_0
	v_lshlrev_b32_sdwa v121, v86, v42 dst_sel:DWORD dst_unused:UNUSED_PAD src0_sel:DWORD src1_sel:BYTE_1
	v_bfe_u32 v42, v42, 16, 8
	v_lshlrev_b32_e32 v12, 6, v2
	v_mul_lo_u32 v3, v18, v3
	v_mul_lo_u32 v6, v18, v6
	;; [unrolled: 1-line block ×4, first 2 shown]
	v_lshl_or_b32 v122, v42, 3, v87
	v_add_u32_e32 v42, 0x54, v2
	v_or_b32_e32 v2, 0x60, v2
	v_lshlrev_b32_sdwa v0, v86, v1 dst_sel:DWORD dst_unused:UNUSED_PAD src0_sel:DWORD src1_sel:BYTE_1
	v_bfe_u32 v1, v1, 16, 8
	v_lshlrev_b32_sdwa v4, v86, v3 dst_sel:DWORD dst_unused:UNUSED_PAD src0_sel:DWORD src1_sel:BYTE_0
	v_lshlrev_b32_sdwa v5, v86, v3 dst_sel:DWORD dst_unused:UNUSED_PAD src0_sel:DWORD src1_sel:BYTE_1
	v_bfe_u32 v3, v3, 16, 8
	v_lshlrev_b32_sdwa v7, v86, v6 dst_sel:DWORD dst_unused:UNUSED_PAD src0_sel:DWORD src1_sel:BYTE_0
	;; [unrolled: 3-line block ×4, first 2 shown]
	v_lshlrev_b32_sdwa v15, v86, v13 dst_sel:DWORD dst_unused:UNUSED_PAD src0_sel:DWORD src1_sel:BYTE_1
	v_bfe_u32 v13, v13, 16, 8
	v_mul_lo_u32 v42, v18, v42
	v_mul_lo_u32 v2, v18, v2
	v_lshl_or_b32 v1, v1, 3, v87
	v_lshl_or_b32 v3, v3, 3, v87
	;; [unrolled: 1-line block ×5, first 2 shown]
	v_lshlrev_b32_sdwa v123, v86, v42 dst_sel:DWORD dst_unused:UNUSED_PAD src0_sel:DWORD src1_sel:BYTE_0
	v_lshlrev_b32_sdwa v124, v86, v42 dst_sel:DWORD dst_unused:UNUSED_PAD src0_sel:DWORD src1_sel:BYTE_1
	v_bfe_u32 v42, v42, 16, 8
	v_lshlrev_b32_sdwa v126, v86, v2 dst_sel:DWORD dst_unused:UNUSED_PAD src0_sel:DWORD src1_sel:BYTE_0
	v_lshlrev_b32_sdwa v127, v86, v2 dst_sel:DWORD dst_unused:UNUSED_PAD src0_sel:DWORD src1_sel:BYTE_1
	v_bfe_u32 v2, v2, 16, 8
	v_lshl_or_b32 v125, v42, 3, v87
	v_lshl_or_b32 v128, v2, 3, v87
	global_load_dwordx2 v[110:111], v0, s[0:1] offset:2048
	global_load_dwordx2 v[108:109], v1, s[0:1]
	global_load_dwordx2 v[104:105], v4, s[0:1]
	global_load_dwordx2 v[106:107], v5, s[0:1] offset:2048
	global_load_dwordx2 v[102:103], v3, s[0:1]
	global_load_dwordx2 v[98:99], v7, s[0:1]
	;; [unrolled: 3-line block ×5, first 2 shown]
                                        ; kill: killed $vgpr8
                                        ; kill: killed $vgpr3
                                        ; kill: killed $vgpr7
                                        ; kill: killed $vgpr5
                                        ; kill: killed $vgpr1
                                        ; kill: killed $vgpr4
                                        ; kill: killed $vgpr0
                                        ; kill: killed $vgpr13
                                        ; kill: killed $vgpr43
                                        ; kill: killed $vgpr15
                                        ; kill: killed $vgpr9
                                        ; kill: killed $vgpr14
                                        ; kill: killed $vgpr11
                                        ; kill: killed $vgpr6
                                        ; kill: killed $vgpr10
	global_load_dwordx2 v[66:67], v54, s[0:1] offset:2048
	global_load_dwordx2 v[64:65], v55, s[0:1]
	global_load_dwordx2 v[60:61], v120, s[0:1]
	global_load_dwordx2 v[62:63], v121, s[0:1] offset:2048
	global_load_dwordx2 v[58:59], v122, s[0:1]
	global_load_dwordx2 v[50:51], v123, s[0:1]
	;; [unrolled: 3-line block ×3, first 2 shown]
	global_load_dwordx2 v[46:47], v127, s[0:1] offset:2048
	global_load_dwordx2 v[42:43], v128, s[0:1]
	global_load_dwordx4 v[0:3], v12, s[18:19] offset:96
	global_load_dwordx4 v[4:7], v12, s[18:19] offset:80
	;; [unrolled: 1-line block ×3, first 2 shown]
                                        ; kill: killed $vgpr124
                                        ; kill: killed $vgpr122
                                        ; kill: killed $vgpr123
                                        ; kill: killed $vgpr121
                                        ; kill: killed $vgpr55
                                        ; kill: killed $vgpr120
                                        ; kill: killed $vgpr54
                                        ; kill: killed $vgpr128
                                        ; kill: killed $sgpr0_sgpr1
                                        ; kill: killed $vgpr127
                                        ; kill: killed $vgpr125
                                        ; kill: killed $vgpr126
	s_nop 0
	global_load_dwordx4 v[12:15], v12, s[18:19] offset:48
	s_cbranch_vccnz .LBB0_14
; %bb.13:
	v_mad_u64_u32 v[54:55], s[0:1], s8, v16, 0
	v_mov_b32_e32 v120, v55
	v_mad_u64_u32 v[120:121], s[0:1], s9, v16, v[120:121]
	v_mov_b32_e32 v55, v120
	;; [unrolled: 2-line block ×3, first 2 shown]
	v_mad_u64_u32 v[122:123], s[0:1], s13, v114, v[122:123]
	s_lshl_b64 s[0:1], s[6:7], 3
	s_add_u32 s0, s14, s0
	s_addc_u32 s1, s15, s1
	v_mov_b32_e32 v121, v122
	v_lshl_add_u64 v[54:55], v[54:55], 3, s[0:1]
	v_lshl_add_u64 v[120:121], v[120:121], 3, v[54:55]
	global_store_dwordx2 v[120:121], v[38:39], off
	v_mad_u64_u32 v[120:121], s[0:1], s12, v116, 0
	v_mov_b32_e32 v122, v121
	v_mad_u64_u32 v[122:123], s[0:1], s13, v116, v[122:123]
	v_mov_b32_e32 v121, v122
	v_lshl_add_u64 v[120:121], v[120:121], 3, v[54:55]
	global_store_dwordx2 v[120:121], v[70:71], off
	v_mad_u64_u32 v[120:121], s[0:1], s12, v115, 0
	v_mov_b32_e32 v122, v121
	v_mad_u64_u32 v[122:123], s[0:1], s13, v115, v[122:123]
	v_mov_b32_e32 v121, v122
	;; [unrolled: 6-line block ×3, first 2 shown]
	v_lshl_add_u64 v[120:121], v[120:121], 3, v[54:55]
	v_add_u32_e32 v123, 48, v114
	global_store_dwordx2 v[120:121], v[72:73], off
	v_mad_u64_u32 v[120:121], s[0:1], s12, v123, 0
	v_mov_b32_e32 v122, v121
	v_mad_u64_u32 v[122:123], s[0:1], s13, v123, v[122:123]
	v_mov_b32_e32 v121, v122
	v_lshl_add_u64 v[120:121], v[120:121], 3, v[54:55]
	global_store_dwordx2 v[120:121], v[74:75], off
	v_mad_u64_u32 v[120:121], s[0:1], s12, v118, 0
	v_mov_b32_e32 v122, v121
	v_mad_u64_u32 v[122:123], s[0:1], s13, v118, v[122:123]
	v_mov_b32_e32 v121, v122
	v_lshl_add_u64 v[120:121], v[120:121], 3, v[54:55]
	;; [unrolled: 6-line block ×3, first 2 shown]
	v_add_u32_e32 v119, 0x54, v114
	global_store_dwordx2 v[120:121], v[80:81], off
	v_mad_u64_u32 v[120:121], s[0:1], s12, v119, 0
	v_mov_b32_e32 v122, v121
	v_mad_u64_u32 v[122:123], s[0:1], s13, v119, v[122:123]
	v_mov_b32_e32 v121, v122
	v_lshl_add_u64 v[120:121], v[120:121], 3, v[54:55]
	v_add_u32_e32 v119, 0x60, v114
	global_store_dwordx2 v[120:121], v[82:83], off
	v_mad_u64_u32 v[120:121], s[0:1], s12, v119, 0
	v_mov_b32_e32 v122, v121
	v_mad_u64_u32 v[122:123], s[0:1], s13, v119, v[122:123]
	v_mov_b32_e32 v121, v122
	v_lshl_add_u64 v[120:121], v[120:121], 3, v[54:55]
	s_and_b64 s[0:1], s[2:3], exec
	global_store_dwordx2 v[120:121], v[84:85], off
	s_cbranch_execz .LBB0_15
	s_branch .LBB0_18
.LBB0_14:
	s_mov_b64 s[0:1], 0
                                        ; implicit-def: $vgpr54_vgpr55
.LBB0_15:
	v_cmp_gt_u64_e32 vcc, s[16:17], v[18:19]
                                        ; implicit-def: $vgpr54_vgpr55
	s_and_saveexec_b64 s[4:5], vcc
	s_cbranch_execz .LBB0_17
; %bb.16:
	v_mad_u64_u32 v[18:19], s[10:11], s8, v16, 0
	v_mov_b32_e32 v54, v19
	v_mad_u64_u32 v[54:55], s[8:9], s9, v16, v[54:55]
	v_mad_u64_u32 v[120:121], s[8:9], s12, v114, 0
	s_lshl_b64 s[6:7], s[6:7], 3
	v_mov_b32_e32 v16, v121
	s_add_u32 s6, s14, s6
	v_mov_b32_e32 v19, v54
	v_mad_u64_u32 v[54:55], s[8:9], s13, v114, v[16:17]
	s_addc_u32 s7, s15, s7
	v_mov_b32_e32 v121, v54
	v_lshl_add_u64 v[54:55], v[18:19], 3, s[6:7]
	v_lshl_add_u64 v[18:19], v[120:121], 3, v[54:55]
	global_store_dwordx2 v[18:19], v[38:39], off
	v_mad_u64_u32 v[18:19], s[6:7], s12, v116, 0
	v_mov_b32_e32 v16, v19
	v_mad_u64_u32 v[38:39], s[6:7], s13, v116, v[16:17]
	v_mov_b32_e32 v19, v38
	v_lshl_add_u64 v[18:19], v[18:19], 3, v[54:55]
	global_store_dwordx2 v[18:19], v[70:71], off
	v_mad_u64_u32 v[18:19], s[6:7], s12, v115, 0
	v_mov_b32_e32 v16, v19
	v_mad_u64_u32 v[38:39], s[6:7], s13, v115, v[16:17]
	v_mov_b32_e32 v19, v38
	;; [unrolled: 6-line block ×3, first 2 shown]
	v_lshl_add_u64 v[18:19], v[18:19], 3, v[54:55]
	v_add_u32_e32 v38, 48, v114
	global_store_dwordx2 v[18:19], v[72:73], off
	v_mad_u64_u32 v[18:19], s[6:7], s12, v38, 0
	v_mov_b32_e32 v16, v19
	v_mad_u64_u32 v[38:39], s[6:7], s13, v38, v[16:17]
	v_mov_b32_e32 v19, v38
	v_lshl_add_u64 v[18:19], v[18:19], 3, v[54:55]
	global_store_dwordx2 v[18:19], v[74:75], off
	v_mad_u64_u32 v[18:19], s[6:7], s12, v118, 0
	v_mov_b32_e32 v16, v19
	v_mad_u64_u32 v[38:39], s[6:7], s13, v118, v[16:17]
	v_mov_b32_e32 v19, v38
	v_lshl_add_u64 v[18:19], v[18:19], 3, v[54:55]
	v_add_u32_e32 v38, 0x48, v114
	global_store_dwordx2 v[18:19], v[78:79], off
	v_mad_u64_u32 v[18:19], s[6:7], s12, v38, 0
	v_mov_b32_e32 v16, v19
	v_mad_u64_u32 v[38:39], s[6:7], s13, v38, v[16:17]
	v_mov_b32_e32 v19, v38
	v_lshl_add_u64 v[18:19], v[18:19], 3, v[54:55]
	v_add_u32_e32 v38, 0x54, v114
	;; [unrolled: 7-line block ×3, first 2 shown]
	global_store_dwordx2 v[18:19], v[82:83], off
	v_mad_u64_u32 v[18:19], s[6:7], s12, v38, 0
	v_mov_b32_e32 v16, v19
	v_mad_u64_u32 v[38:39], s[6:7], s13, v38, v[16:17]
	v_mov_b32_e32 v19, v38
	s_andn2_b64 s[0:1], s[0:1], exec
	s_and_b64 s[2:3], s[2:3], exec
	v_lshl_add_u64 v[18:19], v[18:19], 3, v[54:55]
	s_or_b64 s[0:1], s[0:1], s[2:3]
	global_store_dwordx2 v[18:19], v[84:85], off
.LBB0_17:
	s_or_b64 exec, exec, s[4:5]
.LBB0_18:
	s_and_saveexec_b64 s[2:3], s[0:1]
	s_cbranch_execnz .LBB0_20
; %bb.19:
	s_endpgm
.LBB0_20:
	s_waitcnt vmcnt(29)
	v_pk_mul_f32 v[18:19], v[76:77], v[110:111] op_sel:[1,0] op_sel_hi:[0,1]
	v_mul_f32_e32 v16, v76, v110
	v_add_f32_e32 v19, v18, v19
	v_fma_f32 v38, -v77, v111, v16
	s_waitcnt vmcnt(28)
	v_mul_f32_e32 v16, v19, v109
	v_fma_f32 v16, v108, v38, -v16
	v_mul_f32_e32 v18, v38, v109
	s_waitcnt vmcnt(26)
	v_mul_f32_e32 v38, v104, v107
	v_fmac_f32_e32 v18, v108, v19
	v_mul_f32_e32 v19, v105, v107
	v_fmac_f32_e32 v38, v105, v106
	v_fma_f32 v19, v104, v106, -v19
	s_waitcnt vmcnt(25)
	v_mul_f32_e32 v39, v38, v103
	v_fma_f32 v72, v102, v19, -v39
	v_mul_f32_e32 v78, v19, v103
	s_waitcnt vmcnt(23)
	v_mul_f32_e32 v19, v99, v101
	v_fmac_f32_e32 v78, v102, v38
	v_fma_f32 v19, v98, v100, -v19
	v_mul_f32_e32 v38, v98, v101
	v_fmac_f32_e32 v38, v99, v100
	s_waitcnt vmcnt(22)
	v_mul_f32_e32 v80, v19, v97
	s_waitcnt vmcnt(17)
	v_pk_mul_f32 v[70:71], v[90:91], v[94:95] op_sel:[1,0] op_sel_hi:[0,1]
	v_mul_f32_e32 v39, v38, v97
	v_fmac_f32_e32 v80, v96, v38
	v_mul_f32_e32 v38, v90, v94
	v_add_f32_e32 v40, v70, v71
	v_fma_f32 v38, -v91, v95, v38
	s_waitcnt vmcnt(16)
	v_mul_f32_e32 v70, v40, v87
	v_fma_f32 v79, v96, v19, -v39
	v_mul_f32_e32 v39, v89, v92
	v_fma_f32 v70, v86, v38, -v70
	v_mul_f32_e32 v73, v38, v87
	v_mov_b32_e32 v38, v25
	s_waitcnt vmcnt(0)
	v_pk_mul_f32 v[74:75], v[38:39], v[12:13] op_sel_hi:[0,1]
	v_pk_fma_f32 v[76:77], v[24:25], v[12:13], v[74:75] op_sel:[0,0,1] op_sel_hi:[1,1,0]
	v_pk_fma_f32 v[12:13], v[24:25], v[12:13], v[74:75] op_sel:[0,0,1] op_sel_hi:[0,1,0] neg_lo:[1,0,0] neg_hi:[1,0,0]
	v_mov_b32_e32 v12, v23
	v_mov_b32_e32 v24, v23
	v_mov_b32_e32 v74, v15
	v_mov_b32_e32 v75, v14
	v_pk_mul_f32 v[14:15], v[22:23], v[14:15] op_sel_hi:[0,1]
	v_mov_b32_e32 v77, v13
	v_pk_fma_f32 v[12:13], v[12:13], v[74:75], v[14:15]
	v_pk_fma_f32 v[14:15], v[24:25], v[74:75], v[14:15] op_sel_hi:[0,1,1] neg_lo:[0,0,1] neg_hi:[0,0,1]
	v_mov_b32_e32 v14, v35
	v_mov_b32_e32 v13, v15
	v_pk_mul_f32 v[14:15], v[14:15], v[8:9] op_sel_hi:[0,1]
	v_pk_fma_f32 v[22:23], v[34:35], v[8:9], v[14:15] op_sel:[0,0,1] op_sel_hi:[1,1,0]
	v_pk_fma_f32 v[8:9], v[34:35], v[8:9], v[14:15] op_sel:[0,0,1] op_sel_hi:[0,1,0] neg_lo:[1,0,0] neg_hi:[1,0,0]
	v_mov_b32_e32 v8, v33
	v_mov_b32_e32 v23, v9
	v_pk_mul_f32 v[8:9], v[8:9], v[10:11] op_sel_hi:[0,1]
	v_pk_fma_f32 v[14:15], v[32:33], v[10:11], v[8:9] op_sel:[0,0,1] op_sel_hi:[1,1,0]
	v_pk_fma_f32 v[8:9], v[32:33], v[10:11], v[8:9] op_sel:[0,0,1] op_sel_hi:[0,1,0] neg_lo:[1,0,0] neg_hi:[1,0,0]
	;; [unrolled: 5-line block ×4, first 2 shown]
	v_mov_b32_e32 v4, v29
	v_mov_b32_e32 v6, v29
	;; [unrolled: 1-line block ×4, first 2 shown]
	v_pk_mul_f32 v[0:1], v[28:29], v[0:1] op_sel_hi:[0,1]
	v_mov_b32_e32 v9, v5
	v_pk_fma_f32 v[4:5], v[4:5], v[24:25], v[0:1]
	v_pk_fma_f32 v[0:1], v[6:7], v[24:25], v[0:1] op_sel_hi:[0,1,1] neg_lo:[0,0,1] neg_hi:[0,0,1]
	v_mov_b32_e32 v0, v27
	v_mov_b32_e32 v5, v1
	v_pk_mul_f32 v[0:1], v[0:1], v[2:3] op_sel_hi:[0,1]
	v_pk_fma_f32 v[6:7], v[26:27], v[2:3], v[0:1] op_sel:[0,0,1] op_sel_hi:[1,1,0]
	v_pk_fma_f32 v[0:1], v[26:27], v[2:3], v[0:1] op_sel:[0,0,1] op_sel_hi:[0,1,0] neg_lo:[1,0,0] neg_hi:[1,0,0]
	v_mov_b32_e32 v7, v1
	v_pk_add_f32 v[0:1], v[76:77], v[6:7]
	v_pk_add_f32 v[6:7], v[76:77], v[6:7] neg_lo:[0,1] neg_hi:[0,1]
	v_pk_add_f32 v[2:3], v[12:13], v[4:5]
	v_pk_add_f32 v[24:25], v[22:23], v[8:9]
	v_pk_add_f32 v[4:5], v[12:13], v[4:5] neg_lo:[0,1] neg_hi:[0,1]
	v_pk_add_f32 v[8:9], v[22:23], v[8:9] neg_lo:[0,1] neg_hi:[0,1]
	s_mov_b32 s0, 0x3f5db3d7
	v_mul_f32_e32 v12, 0x3f248dbb, v6
	v_mul_f32_e32 v13, 0x3f248dbb, v7
	v_fmamk_f32 v26, v0, 0x3f441b7d, v20
	v_fmamk_f32 v27, v1, 0x3f441b7d, v21
	v_pk_mul_f32 v[8:9], v[8:9], s[0:1] op_sel_hi:[1,0]
	v_fmac_f32_e32 v12, 0x3f7c1c5c, v4
	v_fmac_f32_e32 v13, 0x3f7c1c5c, v5
	;; [unrolled: 1-line block ×4, first 2 shown]
	v_pk_mul_f32 v[22:23], v[24:25], 0.5 op_sel_hi:[1,0]
	v_add_f32_e32 v28, v8, v12
	v_add_f32_e32 v29, v9, v13
	v_pk_add_f32 v[12:13], v[14:15], v[10:11] neg_lo:[0,1] neg_hi:[0,1]
	v_sub_f32_e32 v30, v26, v22
	v_sub_f32_e32 v31, v27, v23
	v_pk_add_f32 v[26:27], v[14:15], v[10:11]
	v_fmac_f32_e32 v28, 0x3eaf1d44, v12
	v_fmac_f32_e32 v29, 0x3eaf1d44, v13
	v_fmac_f32_e32 v30, 0xbf708fb2, v26
	v_fmac_f32_e32 v31, 0xbf708fb2, v27
	v_sub_f32_e32 v34, v30, v29
	v_add_f32_e32 v35, v28, v31
	v_fma_f32 v36, 2.0, v29, v34
	v_fma_f32 v37, -2.0, v28, v35
	v_mul_f32_e32 v28, 0xbf248dbb, v12
	v_mul_f32_e32 v29, 0xbf248dbb, v13
	v_fmamk_f32 v30, v26, 0x3f441b7d, v20
	v_fmamk_f32 v31, v27, 0x3f441b7d, v21
	v_fmac_f32_e32 v28, 0x3f7c1c5c, v6
	v_fmac_f32_e32 v29, 0x3f7c1c5c, v7
	;; [unrolled: 1-line block ×4, first 2 shown]
	v_sub_f32_e32 v28, v28, v8
	v_sub_f32_e32 v29, v29, v9
	;; [unrolled: 1-line block ×4, first 2 shown]
	v_fmac_f32_e32 v28, 0x3eaf1d44, v4
	v_fmac_f32_e32 v29, 0x3eaf1d44, v5
	;; [unrolled: 1-line block ×4, first 2 shown]
	s_mov_b32 s10, 0xbf7c1c5c
	s_mov_b32 s8, 0xbf248dbb
	v_sub_f32_e32 v71, v22, v29
	v_add_f32_e32 v74, v28, v23
	v_pk_add_f32 v[22:23], v[12:13], v[6:7] op_sel:[1,1] op_sel_hi:[0,0]
	v_pk_mul_f32 v[12:13], v[12:13], s[10:11] op_sel:[1,0] op_sel_hi:[0,0]
	v_pk_fma_f32 v[12:13], v[4:5], s[8:9], v[12:13] op_sel:[1,0,0] op_sel_hi:[0,0,1]
	s_mov_b32 s0, 0x3eaf1d44
	s_mov_b32 s2, 0x3f441b7d
	v_pk_add_f32 v[8:9], v[8:9], v[12:13] op_sel:[1,0] op_sel_hi:[0,1]
	s_mov_b32 s4, 0x3e31d0d4
	v_pk_fma_f32 v[6:7], v[6:7], s[0:1], v[8:9] op_sel:[1,0,0] op_sel_hi:[0,0,1]
	v_pk_fma_f32 v[8:9], v[2:3], s[2:3], v[20:21] op_sel_hi:[1,0,1]
	s_mov_b32 s6, 0xbf708fb2
	v_pk_fma_f32 v[8:9], v[26:27], s[4:5], v[8:9] op_sel_hi:[1,0,1]
	v_mul_f32_e32 v41, v88, v93
	v_pk_fma_f32 v[8:9], v[24:25], 0.5, v[8:9] op_sel_hi:[1,0,1] neg_lo:[1,0,0] neg_hi:[1,0,0]
	v_fmac_f32_e32 v73, v86, v40
	v_pk_fma_f32 v[8:9], v[0:1], s[6:7], v[8:9] op_sel_hi:[1,0,1]
	v_pk_add_f32 v[0:1], v[2:3], v[0:1]
	v_pk_add_f32 v[12:13], v[8:9], v[6:7] neg_lo:[0,1] neg_hi:[0,1]
	v_pk_add_f32 v[2:3], v[26:27], v[0:1]
	v_pk_add_f32 v[0:1], v[24:25], v[0:1]
	;; [unrolled: 1-line block ×3, first 2 shown]
	v_mov_b32_e32 v38, v21
	v_mov_b32_e32 v40, v25
	v_pk_add_f32 v[0:1], v[14:15], v[0:1]
	v_fma_f32 v77, 2.0, v6, v12
	v_fma_f32 v82, -2.0, v7, v9
	v_mul_f32_e32 v6, 0.5, v3
	v_pk_add_f32 v[26:27], v[38:39], v[40:41]
	v_mov_b32_e32 v7, v68
	v_pk_add_f32 v[0:1], v[10:11], v[0:1]
	v_mul_f32_e32 v19, v88, v92
	v_mul_f32_e32 v81, v89, v93
	v_pk_add_f32 v[32:33], v[26:27], v[6:7] neg_lo:[0,1] neg_hi:[0,1]
	v_pk_mul_f32 v[6:7], v[26:27], v[6:7]
	v_pk_add_f32 v[0:1], v[20:21], v[0:1]
	v_fma_f32 v75, 2.0, v29, v71
	v_fma_f32 v76, -2.0, v28, v74
	v_pk_add_f32 v[28:29], v[22:23], v[4:5] op_sel:[0,1] op_sel_hi:[1,0] neg_lo:[0,1] neg_hi:[0,1]
	v_mov_b32_e32 v33, v7
	v_pk_mul_f32 v[6:7], v[0:1], v[18:19] op_sel_hi:[1,0]
	v_mov_b32_e32 v18, v23
	v_mov_b32_e32 v5, v81
	v_pk_add_f32 v[30:31], v[20:21], v[24:25]
	v_mul_f32_e32 v2, 0.5, v2
	v_pk_add_f32 v[4:5], v[18:19], v[4:5] neg_lo:[0,1] neg_hi:[0,1]
	v_mov_b32_e32 v3, v68
	v_pk_add_f32 v[24:25], v[30:31], v[2:3] neg_lo:[0,1] neg_hi:[0,1]
	v_pk_mul_f32 v[2:3], v[4:5], v[2:3]
	v_mov_b32_e32 v18, 0x3f5db3d7
	v_mov_b32_e32 v19, v69
	;; [unrolled: 1-line block ×4, first 2 shown]
	v_pk_fma_f32 v[10:11], v[0:1], v[16:17], v[6:7] op_sel:[0,0,1] op_sel_hi:[1,1,0]
	v_pk_fma_f32 v[0:1], v[0:1], v[16:17], v[6:7] op_sel:[0,0,1] op_sel_hi:[1,0,0] neg_lo:[0,0,1] neg_hi:[0,0,1]
	v_pk_mul_f32 v[20:21], v[4:5], v[18:19]
	v_pk_fma_f32 v[2:3], v[28:29], v[18:19], v[24:25] neg_lo:[1,0,0] neg_hi:[1,0,0]
	v_pk_fma_f32 v[4:5], v[4:5], v[18:19], v[32:33]
	v_mul_f32_e32 v0, v34, v78
	v_fma_f32 v11, -2.0, v20, v4
	v_mov_b32_e32 v20, v5
	v_mov_b32_e32 v21, v2
	v_mul_f32_e32 v6, v35, v78
	v_fma_f32 v7, v35, v72, -v0
	v_mul_f32_e32 v0, v71, v80
	v_pk_mul_f32 v[22:23], v[28:29], v[18:19]
	v_mov_b32_e32 v18, v3
	v_mov_b32_e32 v19, v4
	v_pk_mul_f32 v[4:5], v[4:5], v[20:21]
	v_fmac_f32_e32 v6, v34, v72
	v_fma_f32 v15, v74, v79, -v0
	v_fma_f32 v0, 2.0, v22, v2
	v_pk_fma_f32 v[20:21], v[2:3], v[18:19], v[4:5]
	v_pk_fma_f32 v[2:3], v[2:3], v[18:19], v[4:5] neg_lo:[0,0,1] neg_hi:[0,0,1]
	v_mov_b32_e32 v72, v9
	v_mov_b32_e32 v4, v73
	;; [unrolled: 1-line block ×4, first 2 shown]
	v_pk_mul_f32 v[4:5], v[72:73], v[4:5]
	v_mul_f32_e32 v2, v57, v67
	v_pk_fma_f32 v[12:13], v[12:13], v[70:71], v[4:5]
	v_pk_fma_f32 v[4:5], v[8:9], v[70:71], v[4:5] op_sel_hi:[1,0,1] neg_lo:[0,0,1] neg_hi:[0,0,1]
	v_fma_f32 v2, v56, v66, -v2
	v_mul_f32_e32 v4, v56, v67
	v_fmac_f32_e32 v4, v57, v66
	v_mul_f32_e32 v8, v4, v65
	v_fma_f32 v9, v64, v2, -v8
	v_mul_f32_e32 v2, v2, v65
	v_fmac_f32_e32 v2, v64, v4
	v_mul_f32_e32 v8, v82, v2
	v_mul_f32_e32 v2, v77, v2
	;; [unrolled: 1-line block ×3, first 2 shown]
	v_fmac_f32_e32 v8, v77, v9
	v_fma_f32 v9, v82, v9, -v2
	v_mul_f32_e32 v2, v61, v63
	v_fmac_f32_e32 v4, v61, v62
	v_fma_f32 v2, v60, v62, -v2
	v_mul_f32_e32 v13, v4, v59
	v_fma_f32 v13, v58, v2, -v13
	v_mul_f32_e32 v2, v2, v59
	v_fmac_f32_e32 v2, v58, v4
	v_mul_f32_e32 v18, v11, v2
	v_fmac_f32_e32 v18, v0, v13
	v_mul_f32_e32 v0, v0, v2
	v_mul_f32_e32 v2, v50, v53
	v_fma_f32 v19, v11, v13, -v0
	v_mul_f32_e32 v0, v51, v53
	v_fmac_f32_e32 v2, v51, v52
	v_fma_f32 v0, v50, v52, -v0
	v_mul_f32_e32 v4, v2, v49
	v_fma_f32 v4, v48, v0, -v4
	v_mul_f32_e32 v0, v0, v49
	v_fmac_f32_e32 v0, v48, v2
	v_mul_f32_e32 v22, v76, v0
	v_mul_f32_e32 v0, v75, v0
	;; [unrolled: 1-line block ×3, first 2 shown]
	v_fma_f32 v23, v76, v4, -v0
	v_mul_f32_e32 v0, v45, v47
	v_fmac_f32_e32 v2, v45, v46
	v_fmac_f32_e32 v22, v75, v4
	v_fma_f32 v0, v44, v46, -v0
	v_mul_f32_e32 v4, v2, v43
	v_fma_f32 v4, v42, v0, -v4
	v_mul_f32_e32 v0, v0, v43
	v_fmac_f32_e32 v0, v42, v2
	v_mul_f32_e32 v24, v37, v0
	v_mul_f32_e32 v0, v36, v0
	v_mad_u64_u32 v[26:27], s[0:1], s12, v17, 0
	v_fma_f32 v25, v37, v4, -v0
	v_mov_b32_e32 v0, v27
	v_fmac_f32_e32 v24, v36, v4
	v_mad_u64_u32 v[16:17], s[0:1], s13, v17, v[0:1]
	v_add_u32_e32 v4, 21, v112
	v_mov_b32_e32 v27, v16
	v_mov_b32_e32 v11, v1
	v_mad_u64_u32 v[0:1], s[0:1], s12, v4, 0
	v_lshl_add_u64 v[16:17], v[26:27], 3, v[54:55]
	v_mov_b32_e32 v2, v1
	global_store_dwordx2 v[16:17], v[10:11], off
	v_mad_u64_u32 v[10:11], s[0:1], s13, v4, v[2:3]
	v_mov_b32_e32 v1, v10
	v_lshl_add_u64 v[0:1], v[0:1], 3, v[54:55]
	v_add_u32_e32 v4, 33, v112
	global_store_dwordx2 v[0:1], v[6:7], off
	v_mad_u64_u32 v[0:1], s[0:1], s12, v4, 0
	v_mov_b32_e32 v2, v1
	v_mad_u64_u32 v[6:7], s[0:1], s13, v4, v[2:3]
	v_mul_f32_e32 v14, v74, v80
	v_mov_b32_e32 v1, v6
	v_fmac_f32_e32 v14, v71, v79
	v_lshl_add_u64 v[0:1], v[0:1], 3, v[54:55]
	global_store_dwordx2 v[0:1], v[14:15], off
	v_mad_u64_u32 v[0:1], s[0:1], s12, v113, 0
	v_mov_b32_e32 v2, v1
	v_mad_u64_u32 v[6:7], s[0:1], s13, v113, v[2:3]
	v_mov_b32_e32 v1, v6
	v_lshl_add_u64 v[0:1], v[0:1], 3, v[54:55]
	v_mov_b32_e32 v21, v3
	v_add_u32_e32 v3, 57, v112
	global_store_dwordx2 v[0:1], v[20:21], off
	v_mad_u64_u32 v[0:1], s[0:1], s12, v3, 0
	v_mov_b32_e32 v2, v1
	v_mad_u64_u32 v[2:3], s[0:1], s13, v3, v[2:3]
	v_mov_b32_e32 v1, v2
	v_lshl_add_u64 v[0:1], v[0:1], 3, v[54:55]
	v_mov_b32_e32 v13, v5
	v_add_u32_e32 v3, 0x45, v112
	global_store_dwordx2 v[0:1], v[12:13], off
	v_mad_u64_u32 v[0:1], s[0:1], s12, v3, 0
	v_mov_b32_e32 v2, v1
	v_mad_u64_u32 v[2:3], s[0:1], s13, v3, v[2:3]
	v_mov_b32_e32 v1, v2
	v_lshl_add_u64 v[0:1], v[0:1], 3, v[54:55]
	v_add_u32_e32 v3, 0x51, v112
	global_store_dwordx2 v[0:1], v[8:9], off
	v_mad_u64_u32 v[0:1], s[0:1], s12, v3, 0
	v_mov_b32_e32 v2, v1
	v_mad_u64_u32 v[2:3], s[0:1], s13, v3, v[2:3]
	v_mov_b32_e32 v1, v2
	v_lshl_add_u64 v[0:1], v[0:1], 3, v[54:55]
	;; [unrolled: 7-line block ×4, first 2 shown]
	global_store_dwordx2 v[0:1], v[24:25], off
	s_endpgm
	.section	.rodata,"a",@progbits
	.p2align	6, 0x0
	.amdhsa_kernel fft_rtc_back_len108_factors_6_2_9_wgs_252_tpt_9_dim2_sp_ip_CI_sbcc_twdbase8_3step_dirReg
		.amdhsa_group_segment_fixed_size 0
		.amdhsa_private_segment_fixed_size 0
		.amdhsa_kernarg_size 88
		.amdhsa_user_sgpr_count 2
		.amdhsa_user_sgpr_dispatch_ptr 0
		.amdhsa_user_sgpr_queue_ptr 0
		.amdhsa_user_sgpr_kernarg_segment_ptr 1
		.amdhsa_user_sgpr_dispatch_id 0
		.amdhsa_user_sgpr_kernarg_preload_length 0
		.amdhsa_user_sgpr_kernarg_preload_offset 0
		.amdhsa_user_sgpr_private_segment_size 0
		.amdhsa_uses_dynamic_stack 0
		.amdhsa_enable_private_segment 0
		.amdhsa_system_sgpr_workgroup_id_x 1
		.amdhsa_system_sgpr_workgroup_id_y 0
		.amdhsa_system_sgpr_workgroup_id_z 0
		.amdhsa_system_sgpr_workgroup_info 0
		.amdhsa_system_vgpr_workitem_id 0
		.amdhsa_next_free_vgpr 129
		.amdhsa_next_free_sgpr 30
		.amdhsa_accum_offset 132
		.amdhsa_reserve_vcc 1
		.amdhsa_float_round_mode_32 0
		.amdhsa_float_round_mode_16_64 0
		.amdhsa_float_denorm_mode_32 3
		.amdhsa_float_denorm_mode_16_64 3
		.amdhsa_dx10_clamp 1
		.amdhsa_ieee_mode 1
		.amdhsa_fp16_overflow 0
		.amdhsa_tg_split 0
		.amdhsa_exception_fp_ieee_invalid_op 0
		.amdhsa_exception_fp_denorm_src 0
		.amdhsa_exception_fp_ieee_div_zero 0
		.amdhsa_exception_fp_ieee_overflow 0
		.amdhsa_exception_fp_ieee_underflow 0
		.amdhsa_exception_fp_ieee_inexact 0
		.amdhsa_exception_int_div_zero 0
	.end_amdhsa_kernel
	.text
.Lfunc_end0:
	.size	fft_rtc_back_len108_factors_6_2_9_wgs_252_tpt_9_dim2_sp_ip_CI_sbcc_twdbase8_3step_dirReg, .Lfunc_end0-fft_rtc_back_len108_factors_6_2_9_wgs_252_tpt_9_dim2_sp_ip_CI_sbcc_twdbase8_3step_dirReg
                                        ; -- End function
	.section	.AMDGPU.csdata,"",@progbits
; Kernel info:
; codeLenInByte = 9640
; NumSgprs: 36
; NumVgprs: 129
; NumAgprs: 0
; TotalNumVgprs: 129
; ScratchSize: 0
; MemoryBound: 0
; FloatMode: 240
; IeeeMode: 1
; LDSByteSize: 0 bytes/workgroup (compile time only)
; SGPRBlocks: 4
; VGPRBlocks: 16
; NumSGPRsForWavesPerEU: 36
; NumVGPRsForWavesPerEU: 129
; AccumOffset: 132
; Occupancy: 3
; WaveLimiterHint : 1
; COMPUTE_PGM_RSRC2:SCRATCH_EN: 0
; COMPUTE_PGM_RSRC2:USER_SGPR: 2
; COMPUTE_PGM_RSRC2:TRAP_HANDLER: 0
; COMPUTE_PGM_RSRC2:TGID_X_EN: 1
; COMPUTE_PGM_RSRC2:TGID_Y_EN: 0
; COMPUTE_PGM_RSRC2:TGID_Z_EN: 0
; COMPUTE_PGM_RSRC2:TIDIG_COMP_CNT: 0
; COMPUTE_PGM_RSRC3_GFX90A:ACCUM_OFFSET: 32
; COMPUTE_PGM_RSRC3_GFX90A:TG_SPLIT: 0
	.text
	.p2alignl 6, 3212836864
	.fill 256, 4, 3212836864
	.type	__hip_cuid_5ec1ee7dbdd48a75,@object ; @__hip_cuid_5ec1ee7dbdd48a75
	.section	.bss,"aw",@nobits
	.globl	__hip_cuid_5ec1ee7dbdd48a75
__hip_cuid_5ec1ee7dbdd48a75:
	.byte	0                               ; 0x0
	.size	__hip_cuid_5ec1ee7dbdd48a75, 1

	.ident	"AMD clang version 19.0.0git (https://github.com/RadeonOpenCompute/llvm-project roc-6.4.0 25133 c7fe45cf4b819c5991fe208aaa96edf142730f1d)"
	.section	".note.GNU-stack","",@progbits
	.addrsig
	.addrsig_sym __hip_cuid_5ec1ee7dbdd48a75
	.amdgpu_metadata
---
amdhsa.kernels:
  - .agpr_count:     0
    .args:
      - .actual_access:  read_only
        .address_space:  global
        .offset:         0
        .size:           8
        .value_kind:     global_buffer
      - .address_space:  global
        .offset:         8
        .size:           8
        .value_kind:     global_buffer
      - .actual_access:  read_only
        .address_space:  global
        .offset:         16
        .size:           8
        .value_kind:     global_buffer
      - .actual_access:  read_only
        .address_space:  global
        .offset:         24
        .size:           8
        .value_kind:     global_buffer
      - .offset:         32
        .size:           8
        .value_kind:     by_value
      - .actual_access:  read_only
        .address_space:  global
        .offset:         40
        .size:           8
        .value_kind:     global_buffer
      - .actual_access:  read_only
        .address_space:  global
        .offset:         48
        .size:           8
        .value_kind:     global_buffer
      - .offset:         56
        .size:           4
        .value_kind:     by_value
      - .actual_access:  read_only
        .address_space:  global
        .offset:         64
        .size:           8
        .value_kind:     global_buffer
      - .actual_access:  read_only
        .address_space:  global
        .offset:         72
        .size:           8
        .value_kind:     global_buffer
      - .address_space:  global
        .offset:         80
        .size:           8
        .value_kind:     global_buffer
    .group_segment_fixed_size: 0
    .kernarg_segment_align: 8
    .kernarg_segment_size: 88
    .language:       OpenCL C
    .language_version:
      - 2
      - 0
    .max_flat_workgroup_size: 252
    .name:           fft_rtc_back_len108_factors_6_2_9_wgs_252_tpt_9_dim2_sp_ip_CI_sbcc_twdbase8_3step_dirReg
    .private_segment_fixed_size: 0
    .sgpr_count:     36
    .sgpr_spill_count: 0
    .symbol:         fft_rtc_back_len108_factors_6_2_9_wgs_252_tpt_9_dim2_sp_ip_CI_sbcc_twdbase8_3step_dirReg.kd
    .uniform_work_group_size: 1
    .uses_dynamic_stack: false
    .vgpr_count:     129
    .vgpr_spill_count: 0
    .wavefront_size: 64
amdhsa.target:   amdgcn-amd-amdhsa--gfx950
amdhsa.version:
  - 1
  - 2
...

	.end_amdgpu_metadata
